;; amdgpu-corpus repo=ROCm/aiter kind=harvested arch=n/a opt=n/a

/root/src/amdgpu-assembly/repos/ROCm__aiter/hsa/gfx950/mla/mla_a16w16_qh16_m16x4_n16x1_coex0_mask1.co:	file format elf64-amdgpu

Disassembly of section .text:

0000000000001000 <_ZN5aiter39mla_a16w16_qh16_m16x4_n16x1_coex0_mask1E>:
	s_and_b32 s1, s1, 0xffff                                   // 000000001000: 8601FF01 0000FFFF
	s_load_dwordx2 s[8:9], s[0:1], 0x0                         // 000000001008: C0060200 00000000
	s_load_dwordx2 s[12:13], s[0:1], 0x10                      // 000000001010: C0060300 00000010
	s_load_dwordx2 s[16:17], s[0:1], 0x20                      // 000000001018: C0060400 00000020
	s_load_dwordx2 s[20:21], s[0:1], 0x30                      // 000000001020: C0060500 00000030
	s_load_dwordx2 s[28:29], s[0:1], 0x40                      // 000000001028: C0060700 00000040
	s_load_dwordx2 s[24:25], s[0:1], 0x50                      // 000000001030: C0060600 00000050
	s_load_dwordx2 s[30:31], s[0:1], 0x60                      // 000000001038: C0060780 00000060
	s_load_dword s64, s[0:1], 0x70                             // 000000001040: C0021000 00000070
	s_load_dword s65, s[0:1], 0x80                             // 000000001048: C0021040 00000080
	s_load_dword s67, s[0:1], 0x90                             // 000000001050: C00210C0 00000090
	s_load_dword s66, s[0:1], 0xa0                             // 000000001058: C0021080 000000A0
	s_load_dword s68, s[0:1], 0xb0                             // 000000001060: C0021100 000000B0
	s_load_dword s69, s[0:1], 0xc0                             // 000000001068: C0021140 000000C0
	s_load_dwordx2 s[32:33], s[0:1], 0xd0                      // 000000001070: C0060800 000000D0
	v_lshrrev_b32_e32 v1, 10, v0                               // 000000001078: 2002008A
	v_lshrrev_b32_e32 v2, 10, v1                               // 00000000107C: 2004028A
	v_and_b32_e32 v2, 0x3ff, v2                                // 000000001080: 260404FF 000003FF
	v_and_b32_e32 v1, 0x3ff, v1                                // 000000001088: 260202FF 000003FF
	v_and_b32_e32 v0, 0x3ff, v0                                // 000000001090: 260000FF 000003FF
	v_lshrrev_b32_e32 v3, 6, v0                                // 000000001098: 20060086
	v_and_b32_e32 v0, 63, v0                                   // 00000000109C: 260000BF
	s_mov_b32 s2, s2                                           // 0000000010A0: BE820002
	s_mov_b32 s3, s3                                           // 0000000010A4: BE830003
	s_mov_b32 s4, s4                                           // 0000000010A8: BE840004
	v_readfirstlane_b32 s7, v3                                 // 0000000010AC: 7E0E0503
	s_waitcnt lgkmcnt(0)                                       // 0000000010B0: BF8CC07F
	s_mov_b32 s65, 16                                          // 0000000010B4: BEC10090
	s_mul_i32 s56, s3, 4                                       // 0000000010B8: 92388403
	s_and_b32 s29, s29, 0xffff                                 // 0000000010BC: 861DFF1D 0000FFFF
	s_and_b32 s31, s31, 0xffff                                 // 0000000010C4: 861FFF1F 0000FFFF
	s_add_u32 s28, s56, s28                                    // 0000000010CC: 801C1C38
	s_addc_u32 s29, 0, s29                                     // 0000000010D0: 821D1D80
	s_load_dword s47, s[28:29], 0x0                            // 0000000010D4: C0020BCE 00000000
	s_load_dword s46, s[28:29], 0x4                            // 0000000010DC: C0020B8E 00000004
	s_mul_i32 s56, s3, 4                                       // 0000000010E4: 92388403
	s_and_b32 s33, s33, 0xffff                                 // 0000000010E8: 8621FF21 0000FFFF
	s_add_u32 s32, s56, s32                                    // 0000000010F0: 80202038
	s_addc_u32 s33, 0, s33                                     // 0000000010F4: 82212180
	s_load_dword s79, s[32:33], 0x0                            // 0000000010F8: C00213D0 00000000
	s_load_dword s78, s[32:33], 0x4                            // 000000001100: C0021390 00000004
	s_mul_i32 s75, 0x800, s65                                  // 000000001108: 924B41FF 00000800
	s_mul_i32 s74, 0x480, s65                                  // 000000001110: 924A41FF 00000480
	s_mul_i32 s56, 4, s65                                      // 000000001118: 92384184
	s_mov_b32 s10, s75                                         // 00000000111C: BE8A004B
	s_mov_b32 s18, -16                                         // 000000001120: BE9200D0
	s_mov_b32 s14, s56                                         // 000000001124: BE8E0038
	s_mov_b32 s22, -16                                         // 000000001128: BE9600D0
	s_mov_b32 s26, -16                                         // 00000000112C: BE9A00D0
	s_mov_b32 s11, 0x20000                                     // 000000001130: BE8B00FF 00020000
	s_mov_b32 s19, 0x20000                                     // 000000001138: BE9300FF 00020000
	s_mov_b32 s15, 0x20000                                     // 000000001140: BE8F00FF 00020000
	s_mov_b32 s23, 0x20000                                     // 000000001148: BE9700FF 00020000
	s_mov_b32 s27, 0x20000                                     // 000000001150: BE9B00FF 00020000
	s_and_b32 s9, s9, 0xffff                                   // 000000001158: 8609FF09 0000FFFF
	s_and_b32 s17, s17, 0xffff                                 // 000000001160: 8611FF11 0000FFFF
	s_and_b32 s13, s13, 0xffff                                 // 000000001168: 860DFF0D 0000FFFF
	s_and_b32 s21, s21, 0xffff                                 // 000000001170: 8615FF15 0000FFFF
	s_and_b32 s25, s25, 0xffff                                 // 000000001178: 8619FF19 0000FFFF
	s_or_b32 s9, s9, 0x40000                                   // 000000001180: 8709FF09 00040000
	s_or_b32 s17, s17, 0x40000                                 // 000000001188: 8711FF11 00040000
	s_or_b32 s13, s13, 0x40000                                 // 000000001190: 870DFF0D 00040000
	s_or_b32 s21, s21, 0x40000                                 // 000000001198: 8715FF15 00040000
	s_or_b32 s25, s25, 0x40000                                 // 0000000011A0: 8719FF19 00040000
	s_waitcnt lgkmcnt(0)                                       // 0000000011A8: BF8CC07F
	s_mul_i32 s80, s2, 8                                       // 0000000011AC: 92508802
	s_sub_u32 s81, s78, s79                                    // 0000000011B0: 80D14F4E
	s_cmp_le_u32 s81, s80                                      // 0000000011B4: BF0B5051
	s_cbranch_scc1 label_1960                                  // 0000000011B8: BF8518F1
	s_mov_b32 s69, 0                                           // 0000000011BC: BEC50080
	s_lshr_b32 s44, 16, s69                                    // 0000000011C0: 8F2C4590
	s_mul_i32 s73, s44, 4                                      // 0000000011C4: 9249842C
	s_mul_i32 s73, s73, s67                                    // 0000000011C8: 92494349
	s_mul_i32 s45, s4, s44                                     // 0000000011CC: 922D2C04
	s_sub_u32 s50, s46, s47                                    // 0000000011D0: 80B22F2E
	s_lshl_b32 s56, s50, s69                                   // 0000000011D4: 8E384532
	s_sub_u32 s82, s56, s81                                    // 0000000011D8: 80D25138
	s_mul_i32 s58, s2, 8                                       // 0000000011DC: 923A8802
	s_add_u32 s82, s82, s58                                    // 0000000011E0: 80523A52
	s_add_u32 s57, s82, 8                                      // 0000000011E4: 80398852
	s_min_u32 s56, s56, s57                                    // 0000000011E8: 83B83938
	s_lshr_b32 s50, s56, s69                                   // 0000000011EC: 8F324538
	s_lshl_b32 s56, s45, s69                                   // 0000000011F0: 8E38452D
	s_add_u32 s83, s56, 15                                     // 0000000011F4: 80538F38
	s_mul_i32 s84, s67, 16                                     // 0000000011F8: 92549043
	s_cmp_le_u32 s50, s45                                      // 0000000011FC: BF0B2D32
	s_cbranch_scc1 label_1960                                  // 000000001200: BF8518DF
	s_mul_i32 s56, s50, 4                                      // 000000001204: 92388432
	s_mov_b32 s26, s56                                         // 000000001208: BE9A0038
	s_mul_i32 s56, s47, 4                                      // 00000000120C: 9238842F
	s_add_u32 s24, s56, s24                                    // 000000001210: 80181838
	s_addc_u32 s25, 0, s25                                     // 000000001214: 82191980
	s_mov_b32 s70, 0                                           // 000000001218: BEC60080
	s_sub_u32 s71, s50, s45                                    // 00000000121C: 80C72D32
	s_mul_i32 s39, s67, s44                                    // 000000001220: 92272C43
	s_mov_b32 s38, s71                                         // 000000001224: BEA60047
	v_cvt_f32_u32_e32 v20, s39                                 // 000000001228: 7E280C27
	s_sub_i32 s56, 0, s39                                      // 00000000122C: 81B82780
	v_rcp_iflag_f32_e32 v20, v20                               // 000000001230: 7E284714
	s_nop 0                                                    // 000000001234: BF800000
	v_mul_f32_e32 v20, 0x4f7ffffe, v20                         // 000000001238: 0A2828FF 4F7FFFFE
	v_cvt_u32_f32_e32 v20, v20                                 // 000000001240: 7E280F14
	v_mul_lo_u32 v21, s56, v20                                 // 000000001244: D2850015 00022838
	v_mul_hi_u32 v21, v20, v21                                 // 00000000124C: D2860015 00022B14
	v_add_u32_e32 v20, v20, v21                                // 000000001254: 68282B14
	v_mul_hi_u32 v20, s38, v20                                 // 000000001258: D2860014 00022826
	v_mul_lo_u32 v21, v20, s39                                 // 000000001260: D2850015 00004F14
	v_sub_u32_e32 v23, s38, v21                                // 000000001268: 6A2E2A26
	v_add_u32_e32 v22, 1, v20                                  // 00000000126C: 682C2881
	v_cmp_le_u32_e32 vcc, s39, v23                             // 000000001270: 7D962E27
	v_subrev_u32_e32 v21, s39, v23                             // 000000001274: 6C2A2E27
	s_nop 0                                                    // 000000001278: BF800000
	v_cndmask_b32_e32 v20, v20, v22, vcc                       // 00000000127C: 00282D14
	v_cndmask_b32_e32 v23, v23, v21, vcc                       // 000000001280: 002E2B17
	v_add_u32_e32 v21, 1, v20                                  // 000000001284: 682A2881
	v_cmp_le_u32_e32 vcc, s39, v23                             // 000000001288: 7D962E27
	s_nop 1                                                    // 00000000128C: BF800001
	v_cndmask_b32_e32 v23, v20, v21, vcc                       // 000000001290: 002E2B14
	s_nop 3                                                    // 000000001294: BF800003
	v_readfirstlane_b32 s40, v23                               // 000000001298: 7E500517
	s_nop 3                                                    // 00000000129C: BF800003
	s_mov_b32 s71, s40                                         // 0000000012A0: BEC70028
	s_mul_i32 s56, s71, s39                                    // 0000000012A4: 92382747
	s_sub_u32 s56, s38, s56                                    // 0000000012A8: 80B83826
	s_mov_b32 s57, 0                                           // 0000000012AC: BEB90080
	s_cmp_lt_u32 s56, s44                                      // 0000000012B0: BF0A2C38
	s_cselect_b32 s57, s57, 1                                  // 0000000012B4: 85398139
	s_add_u32 s71, s57, s71                                    // 0000000012B8: 80474739
	s_cmpk_eq_u32 s57, 0x1                                     // 0000000012BC: B4390001
	s_cselect_b32 s49, 0, s56                                  // 0000000012C0: 85313880
	s_mov_b32 s48, s49                                         // 0000000012C4: BEB00031
	v_lshrrev_b32_e32 v20, 3, v0                               // 0000000012C8: 20280083
	v_and_b32_e32 v21, 1, v20                                  // 0000000012CC: 262A2881
	v_lshlrev_b32_e32 v8, 3, v21                               // 0000000012D0: 24102A83
	v_and_b32_e32 v20, 4, v20                                  // 0000000012D4: 26282884
	v_add_u32_e32 v8, v8, v20                                  // 0000000012D8: 68102908
	v_add_u32_e64 v8, v8, s7                                   // 0000000012DC: D1340008 00000F08
	v_add_u32_e32 v8, s45, v8                                  // 0000000012E4: 6810102D
	v_lshlrev_b32_e32 v8, 2, v8                                // 0000000012E8: 24101082
	buffer_load_dword v10, v8, s[24:27], 0 offen               // 0000000012EC: E0501000 80060A08
	v_add_u32_e32 v8, s73, v8                                  // 0000000012F4: 68101049
	buffer_load_dword v11, v8, s[24:27], 0 offen               // 0000000012F8: E0501000 80060B08
	v_add_u32_e32 v8, s73, v8                                  // 000000001300: 68101049
	s_add_u32 s56, s80, s79                                    // 000000001304: 80384F50
	v_mov_b32_e32 v20, s56                                     // 000000001308: 7E280238
	v_mul_lo_u32 v21, s74, v20                                 // 00000000130C: D2850015 0002284A
	v_mul_hi_u32 v22, s74, v20                                 // 000000001314: D2860016 0002284A
	s_nop 2                                                    // 00000000131C: BF800002
	v_readfirstlane_b32 s56, v21                               // 000000001320: 7E700515
	v_readfirstlane_b32 s57, v22                               // 000000001324: 7E720516
	s_nop 4                                                    // 000000001328: BF800004
	s_add_u32 s16, s56, s16                                    // 00000000132C: 80101038
	s_addc_u32 s17, s57, s17                                   // 000000001330: 82111139
	s_sub_u32 s56, s81, s80                                    // 000000001334: 80B85051
	s_mul_i32 s56, s56, s74                                    // 000000001338: 92384A38
	s_mov_b32 s18, s56                                         // 00000000133C: BE920038
	s_mul_i32 s56, s7, 0x480                                   // 000000001340: 9238FF07 00000480
	v_lshlrev_b32_e32 v30, 2, v0                               // 000000001348: 243C0082
	v_add_u32_e32 v30, s56, v30                                // 00000000134C: 683C3C38
	s_mul_i32 s56, s7, 0x1420                                  // 000000001350: 9238FF07 00001420
	s_add_u32 s34, 0, s56                                      // 000000001358: 80223880
	s_add_u32 s35, 0x5080, s34                                 // 00000000135C: 802322FF 00005080
	s_add_u32 s36, 0x5080, s35                                 // 000000001364: 802423FF 00005080
	v_lshrrev_b32_e32 v20, 4, v0                               // 00000000136C: 20280084
	v_lshlrev_b32_e32 v21, 2, v20                              // 000000001370: 242A2882
	v_and_b32_e32 v20, 15, v0                                  // 000000001374: 2628008F
	v_lshrrev_b32_e32 v22, 2, v20                              // 000000001378: 202C2882
	v_mul_i32_i24_e32 v22, 0x140, v22                          // 00000000137C: 0C2C2CFF 00000140
	v_add_u32_e32 v21, v22, v21                                // 000000001384: 682A2B16
	v_and_b32_e32 v20, 3, v0                                   // 000000001388: 26280083
	v_mul_i32_i24_e32 v22, 0x508, v20                          // 00000000138C: 0C2C28FF 00000508
	v_add_u32_e32 v21, v22, v21                                // 000000001394: 682A2B16
	v_lshlrev_b32_e32 v29, 2, v21                              // 000000001398: 243A2A82
	s_mov_b32 m0, s34                                          // 00000000139C: BEFC0022
	v_add_u32_e32 v28, 0, v30                                  // 0000000013A0: 68383C80
	buffer_load_dword v28, s[16:19], 0 offen lds               // 0000000013A4: E0511000 8004001C
	buffer_load_dword v28, s[16:19], 0 offen offset:256 lds    // 0000000013AC: E0511100 8004001C
	buffer_load_dword v28, s[16:19], 0 offen offset:512 lds    // 0000000013B4: E0511200 8004001C
	buffer_load_dword v28, s[16:19], 0 offen offset:768 lds    // 0000000013BC: E0511300 8004001C
	buffer_load_dword v28, s[16:19], 0 offen offset:1024 lds   // 0000000013C4: E0511400 8004001C
	s_add_u32 m0, m0, 0x500                                    // 0000000013CC: 807CFF7C 00000500
	v_add_u32_e32 v28, 0x1200, v28                             // 0000000013D4: 683838FF 00001200
	buffer_load_dword v28, s[16:19], 0 offen lds               // 0000000013DC: E0511000 8004001C
	buffer_load_dword v28, s[16:19], 0 offen offset:256 lds    // 0000000013E4: E0511100 8004001C
	buffer_load_dword v28, s[16:19], 0 offen offset:512 lds    // 0000000013EC: E0511200 8004001C
	buffer_load_dword v28, s[16:19], 0 offen offset:768 lds    // 0000000013F4: E0511300 8004001C
	buffer_load_dword v28, s[16:19], 0 offen offset:1024 lds   // 0000000013FC: E0511400 8004001C
	s_add_u32 m0, m0, 0x500                                    // 000000001404: 807CFF7C 00000500
	v_add_u32_e32 v28, 0x1200, v28                             // 00000000140C: 683838FF 00001200
	buffer_load_dword v28, s[16:19], 0 offen lds               // 000000001414: E0511000 8004001C
	buffer_load_dword v28, s[16:19], 0 offen offset:256 lds    // 00000000141C: E0511100 8004001C
	buffer_load_dword v28, s[16:19], 0 offen offset:512 lds    // 000000001424: E0511200 8004001C
	buffer_load_dword v28, s[16:19], 0 offen offset:768 lds    // 00000000142C: E0511300 8004001C
	buffer_load_dword v28, s[16:19], 0 offen offset:1024 lds   // 000000001434: E0511400 8004001C
	s_add_u32 m0, m0, 0x500                                    // 00000000143C: 807CFF7C 00000500
	v_add_u32_e32 v28, 0x1200, v28                             // 000000001444: 683838FF 00001200
	buffer_load_dword v28, s[16:19], 0 offen lds               // 00000000144C: E0511000 8004001C
	buffer_load_dword v28, s[16:19], 0 offen offset:256 lds    // 000000001454: E0511100 8004001C
	buffer_load_dword v28, s[16:19], 0 offen offset:512 lds    // 00000000145C: E0511200 8004001C
	buffer_load_dword v28, s[16:19], 0 offen offset:768 lds    // 000000001464: E0511300 8004001C
	buffer_load_dword v28, s[16:19], 0 offen offset:1024 lds   // 00000000146C: E0511400 8004001C
	s_add_u32 m0, m0, 0x500                                    // 000000001474: 807CFF7C 00000500
	v_add_u32_e32 v28, 0x1200, v28                             // 00000000147C: 683838FF 00001200
	s_mov_b32 m0, s35                                          // 000000001484: BEFC0023
	v_add_u32_e32 v28, 0x4800, v30                             // 000000001488: 68383CFF 00004800
	buffer_load_dword v28, s[16:19], 0 offen lds               // 000000001490: E0511000 8004001C
	buffer_load_dword v28, s[16:19], 0 offen offset:256 lds    // 000000001498: E0511100 8004001C
	buffer_load_dword v28, s[16:19], 0 offen offset:512 lds    // 0000000014A0: E0511200 8004001C
	buffer_load_dword v28, s[16:19], 0 offen offset:768 lds    // 0000000014A8: E0511300 8004001C
	buffer_load_dword v28, s[16:19], 0 offen offset:1024 lds   // 0000000014B0: E0511400 8004001C
	s_add_u32 m0, m0, 0x500                                    // 0000000014B8: 807CFF7C 00000500
	v_add_u32_e32 v28, 0x1200, v28                             // 0000000014C0: 683838FF 00001200
	buffer_load_dword v28, s[16:19], 0 offen lds               // 0000000014C8: E0511000 8004001C
	buffer_load_dword v28, s[16:19], 0 offen offset:256 lds    // 0000000014D0: E0511100 8004001C
	buffer_load_dword v28, s[16:19], 0 offen offset:512 lds    // 0000000014D8: E0511200 8004001C
	buffer_load_dword v28, s[16:19], 0 offen offset:768 lds    // 0000000014E0: E0511300 8004001C
	buffer_load_dword v28, s[16:19], 0 offen offset:1024 lds   // 0000000014E8: E0511400 8004001C
	s_add_u32 m0, m0, 0x500                                    // 0000000014F0: 807CFF7C 00000500
	v_add_u32_e32 v28, 0x1200, v28                             // 0000000014F8: 683838FF 00001200
	buffer_load_dword v28, s[16:19], 0 offen lds               // 000000001500: E0511000 8004001C
	buffer_load_dword v28, s[16:19], 0 offen offset:256 lds    // 000000001508: E0511100 8004001C
	buffer_load_dword v28, s[16:19], 0 offen offset:512 lds    // 000000001510: E0511200 8004001C
	buffer_load_dword v28, s[16:19], 0 offen offset:768 lds    // 000000001518: E0511300 8004001C
	buffer_load_dword v28, s[16:19], 0 offen offset:1024 lds   // 000000001520: E0511400 8004001C
	s_add_u32 m0, m0, 0x500                                    // 000000001528: 807CFF7C 00000500
	v_add_u32_e32 v28, 0x1200, v28                             // 000000001530: 683838FF 00001200
	buffer_load_dword v28, s[16:19], 0 offen lds               // 000000001538: E0511000 8004001C
	buffer_load_dword v28, s[16:19], 0 offen offset:256 lds    // 000000001540: E0511100 8004001C
	buffer_load_dword v28, s[16:19], 0 offen offset:512 lds    // 000000001548: E0511200 8004001C
	buffer_load_dword v28, s[16:19], 0 offen offset:768 lds    // 000000001550: E0511300 8004001C
	buffer_load_dword v28, s[16:19], 0 offen offset:1024 lds   // 000000001558: E0511400 8004001C
	s_add_u32 m0, m0, 0x500                                    // 000000001560: 807CFF7C 00000500
	v_add_u32_e32 v28, 0x1200, v28                             // 000000001568: 683838FF 00001200
	s_waitcnt vmcnt(20)                                        // 000000001570: BF8C4F74
	s_barrier                                                  // 000000001574: BF8A0000
	s_mov_b32 m0, s36                                          // 000000001578: BEFC0024
	v_add_u32_e32 v28, 0x9000, v30                             // 00000000157C: 68383CFF 00009000
	buffer_load_dword v28, s[16:19], 0 offen lds               // 000000001584: E0511000 8004001C
	buffer_load_dword v28, s[16:19], 0 offen offset:256 lds    // 00000000158C: E0511100 8004001C
	buffer_load_dword v28, s[16:19], 0 offen offset:512 lds    // 000000001594: E0511200 8004001C
	buffer_load_dword v28, s[16:19], 0 offen offset:768 lds    // 00000000159C: E0511300 8004001C
	buffer_load_dword v28, s[16:19], 0 offen offset:1024 lds   // 0000000015A4: E0511400 8004001C
	s_add_u32 m0, m0, 0x500                                    // 0000000015AC: 807CFF7C 00000500
	v_add_u32_e32 v28, 0x1200, v28                             // 0000000015B4: 683838FF 00001200
	buffer_load_dword v28, s[16:19], 0 offen lds               // 0000000015BC: E0511000 8004001C
	buffer_load_dword v28, s[16:19], 0 offen offset:256 lds    // 0000000015C4: E0511100 8004001C
	buffer_load_dword v28, s[16:19], 0 offen offset:512 lds    // 0000000015CC: E0511200 8004001C
	buffer_load_dword v28, s[16:19], 0 offen offset:768 lds    // 0000000015D4: E0511300 8004001C
	buffer_load_dword v28, s[16:19], 0 offen offset:1024 lds   // 0000000015DC: E0511400 8004001C
	s_add_u32 m0, m0, 0x500                                    // 0000000015E4: 807CFF7C 00000500
	v_add_u32_e32 v28, 0x1200, v28                             // 0000000015EC: 683838FF 00001200
	buffer_load_dword v28, s[16:19], 0 offen lds               // 0000000015F4: E0511000 8004001C
	buffer_load_dword v28, s[16:19], 0 offen offset:256 lds    // 0000000015FC: E0511100 8004001C
	buffer_load_dword v28, s[16:19], 0 offen offset:512 lds    // 000000001604: E0511200 8004001C
	buffer_load_dword v28, s[16:19], 0 offen offset:768 lds    // 00000000160C: E0511300 8004001C
	buffer_load_dword v28, s[16:19], 0 offen offset:1024 lds   // 000000001614: E0511400 8004001C
	s_add_u32 m0, m0, 0x500                                    // 00000000161C: 807CFF7C 00000500
	v_add_u32_e32 v28, 0x1200, v28                             // 000000001624: 683838FF 00001200
	buffer_load_dword v28, s[16:19], 0 offen lds               // 00000000162C: E0511000 8004001C
	buffer_load_dword v28, s[16:19], 0 offen offset:256 lds    // 000000001634: E0511100 8004001C
	buffer_load_dword v28, s[16:19], 0 offen offset:512 lds    // 00000000163C: E0511200 8004001C
	buffer_load_dword v28, s[16:19], 0 offen offset:768 lds    // 000000001644: E0511300 8004001C
	buffer_load_dword v28, s[16:19], 0 offen offset:1024 lds   // 00000000164C: E0511400 8004001C
	s_add_u32 m0, m0, 0x500                                    // 000000001654: 807CFF7C 00000500
	v_add_u32_e32 v28, 0x1200, v28                             // 00000000165C: 683838FF 00001200
	s_cmp_eq_i32 s7, 0                                         // 000000001664: BF008007
	s_cbranch_scc0 label_01C0                                  // 000000001668: BF840025
	ds_read_b128 a[0:3], v29                                   // 00000000166C: DBFE0000 0000001D
	ds_read_b128 a[4:7], v29 offset:64                         // 000000001674: DBFE0040 0400001D
	ds_read_b128 a[8:11], v29 offset:128                       // 00000000167C: DBFE0080 0800001D
	ds_read_b128 a[12:15], v29 offset:192                      // 000000001684: DBFE00C0 0C00001D
	ds_read_b128 a[16:19], v29 offset:256                      // 00000000168C: DBFE0100 1000001D
	ds_read_b128 a[20:23], v29 offset:320                      // 000000001694: DBFE0140 1400001D
	ds_read_b128 a[24:27], v29 offset:384                      // 00000000169C: DBFE0180 1800001D
	ds_read_b128 a[28:31], v29 offset:448                      // 0000000016A4: DBFE01C0 1C00001D
	ds_read_b128 a[32:35], v29 offset:512                      // 0000000016AC: DBFE0200 2000001D
	ds_read_b128 a[36:39], v29 offset:576                      // 0000000016B4: DBFE0240 2400001D
	ds_read_b128 a[40:43], v29 offset:640                      // 0000000016BC: DBFE0280 2800001D
	ds_read_b128 a[44:47], v29 offset:704                      // 0000000016C4: DBFE02C0 2C00001D
	ds_read_b128 a[48:51], v29 offset:768                      // 0000000016CC: DBFE0300 3000001D
	ds_read_b128 a[52:55], v29 offset:832                      // 0000000016D4: DBFE0340 3400001D
	ds_read_b128 a[56:59], v29 offset:896                      // 0000000016DC: DBFE0380 3800001D
	ds_read_b128 a[60:63], v29 offset:960                      // 0000000016E4: DBFE03C0 3C00001D
	ds_read_b128 a[64:67], v29 offset:1024                     // 0000000016EC: DBFE0400 4000001D
	ds_read_b128 a[68:71], v29 offset:1088                     // 0000000016F4: DBFE0440 4400001D
	s_waitcnt lgkmcnt(0)                                       // 0000000016FC: BF8CC07F

0000000000001700 <label_01C0>:
	s_waitcnt vmcnt(20)                                        // 000000001700: BF8C4F74
	s_barrier                                                  // 000000001704: BF8A0000
	s_mov_b32 m0, s34                                          // 000000001708: BEFC0022
	v_add_u32_e32 v28, 0xd800, v30                             // 00000000170C: 68383CFF 0000D800
	buffer_load_dword v28, s[16:19], 0 offen lds               // 000000001714: E0511000 8004001C
	buffer_load_dword v28, s[16:19], 0 offen offset:256 lds    // 00000000171C: E0511100 8004001C
	buffer_load_dword v28, s[16:19], 0 offen offset:512 lds    // 000000001724: E0511200 8004001C
	buffer_load_dword v28, s[16:19], 0 offen offset:768 lds    // 00000000172C: E0511300 8004001C
	buffer_load_dword v28, s[16:19], 0 offen offset:1024 lds   // 000000001734: E0511400 8004001C
	s_add_u32 m0, m0, 0x500                                    // 00000000173C: 807CFF7C 00000500
	v_add_u32_e32 v28, 0x1200, v28                             // 000000001744: 683838FF 00001200
	buffer_load_dword v28, s[16:19], 0 offen lds               // 00000000174C: E0511000 8004001C
	buffer_load_dword v28, s[16:19], 0 offen offset:256 lds    // 000000001754: E0511100 8004001C
	buffer_load_dword v28, s[16:19], 0 offen offset:512 lds    // 00000000175C: E0511200 8004001C
	buffer_load_dword v28, s[16:19], 0 offen offset:768 lds    // 000000001764: E0511300 8004001C
	buffer_load_dword v28, s[16:19], 0 offen offset:1024 lds   // 00000000176C: E0511400 8004001C
	s_add_u32 m0, m0, 0x500                                    // 000000001774: 807CFF7C 00000500
	v_add_u32_e32 v28, 0x1200, v28                             // 00000000177C: 683838FF 00001200
	buffer_load_dword v28, s[16:19], 0 offen lds               // 000000001784: E0511000 8004001C
	buffer_load_dword v28, s[16:19], 0 offen offset:256 lds    // 00000000178C: E0511100 8004001C
	buffer_load_dword v28, s[16:19], 0 offen offset:512 lds    // 000000001794: E0511200 8004001C
	buffer_load_dword v28, s[16:19], 0 offen offset:768 lds    // 00000000179C: E0511300 8004001C
	buffer_load_dword v28, s[16:19], 0 offen offset:1024 lds   // 0000000017A4: E0511400 8004001C
	s_add_u32 m0, m0, 0x500                                    // 0000000017AC: 807CFF7C 00000500
	v_add_u32_e32 v28, 0x1200, v28                             // 0000000017B4: 683838FF 00001200
	buffer_load_dword v28, s[16:19], 0 offen lds               // 0000000017BC: E0511000 8004001C
	buffer_load_dword v28, s[16:19], 0 offen offset:256 lds    // 0000000017C4: E0511100 8004001C
	buffer_load_dword v28, s[16:19], 0 offen offset:512 lds    // 0000000017CC: E0511200 8004001C
	buffer_load_dword v28, s[16:19], 0 offen offset:768 lds    // 0000000017D4: E0511300 8004001C
	buffer_load_dword v28, s[16:19], 0 offen offset:1024 lds   // 0000000017DC: E0511400 8004001C
	s_add_u32 m0, m0, 0x500                                    // 0000000017E4: 807CFF7C 00000500
	v_add_u32_e32 v28, 0x1200, v28                             // 0000000017EC: 683838FF 00001200
	s_cmp_eq_i32 s7, 1                                         // 0000000017F4: BF008107
	s_cbranch_scc0 label_0224                                  // 0000000017F8: BF840025
	ds_read_b128 a[0:3], v29 offset:20608                      // 0000000017FC: DBFE5080 0000001D
	ds_read_b128 a[4:7], v29 offset:20672                      // 000000001804: DBFE50C0 0400001D
	ds_read_b128 a[8:11], v29 offset:20736                     // 00000000180C: DBFE5100 0800001D
	ds_read_b128 a[12:15], v29 offset:20800                    // 000000001814: DBFE5140 0C00001D
	ds_read_b128 a[16:19], v29 offset:20864                    // 00000000181C: DBFE5180 1000001D
	ds_read_b128 a[20:23], v29 offset:20928                    // 000000001824: DBFE51C0 1400001D
	ds_read_b128 a[24:27], v29 offset:20992                    // 00000000182C: DBFE5200 1800001D
	ds_read_b128 a[28:31], v29 offset:21056                    // 000000001834: DBFE5240 1C00001D
	ds_read_b128 a[32:35], v29 offset:21120                    // 00000000183C: DBFE5280 2000001D
	ds_read_b128 a[36:39], v29 offset:21184                    // 000000001844: DBFE52C0 2400001D
	ds_read_b128 a[40:43], v29 offset:21248                    // 00000000184C: DBFE5300 2800001D
	ds_read_b128 a[44:47], v29 offset:21312                    // 000000001854: DBFE5340 2C00001D
	ds_read_b128 a[48:51], v29 offset:21376                    // 00000000185C: DBFE5380 3000001D
	ds_read_b128 a[52:55], v29 offset:21440                    // 000000001864: DBFE53C0 3400001D
	ds_read_b128 a[56:59], v29 offset:21504                    // 00000000186C: DBFE5400 3800001D
	ds_read_b128 a[60:63], v29 offset:21568                    // 000000001874: DBFE5440 3C00001D
	ds_read_b128 a[64:67], v29 offset:21632                    // 00000000187C: DBFE5480 4000001D
	ds_read_b128 a[68:71], v29 offset:21696                    // 000000001884: DBFE54C0 4400001D
	s_waitcnt lgkmcnt(0)                                       // 00000000188C: BF8CC07F

0000000000001890 <label_0224>:
	s_waitcnt vmcnt(20)                                        // 000000001890: BF8C4F74
	s_barrier                                                  // 000000001894: BF8A0000
	s_cmp_eq_i32 s7, 2                                         // 000000001898: BF008207
	s_cbranch_scc0 label_024D                                  // 00000000189C: BF840025
	ds_read_b128 a[0:3], v29 offset:41216                      // 0000000018A0: DBFEA100 0000001D
	ds_read_b128 a[4:7], v29 offset:41280                      // 0000000018A8: DBFEA140 0400001D
	ds_read_b128 a[8:11], v29 offset:41344                     // 0000000018B0: DBFEA180 0800001D
	ds_read_b128 a[12:15], v29 offset:41408                    // 0000000018B8: DBFEA1C0 0C00001D
	ds_read_b128 a[16:19], v29 offset:41472                    // 0000000018C0: DBFEA200 1000001D
	ds_read_b128 a[20:23], v29 offset:41536                    // 0000000018C8: DBFEA240 1400001D
	ds_read_b128 a[24:27], v29 offset:41600                    // 0000000018D0: DBFEA280 1800001D
	ds_read_b128 a[28:31], v29 offset:41664                    // 0000000018D8: DBFEA2C0 1C00001D
	ds_read_b128 a[32:35], v29 offset:41728                    // 0000000018E0: DBFEA300 2000001D
	ds_read_b128 a[36:39], v29 offset:41792                    // 0000000018E8: DBFEA340 2400001D
	ds_read_b128 a[40:43], v29 offset:41856                    // 0000000018F0: DBFEA380 2800001D
	ds_read_b128 a[44:47], v29 offset:41920                    // 0000000018F8: DBFEA3C0 2C00001D
	ds_read_b128 a[48:51], v29 offset:41984                    // 000000001900: DBFEA400 3000001D
	ds_read_b128 a[52:55], v29 offset:42048                    // 000000001908: DBFEA440 3400001D
	ds_read_b128 a[56:59], v29 offset:42112                    // 000000001910: DBFEA480 3800001D
	ds_read_b128 a[60:63], v29 offset:42176                    // 000000001918: DBFEA4C0 3C00001D
	ds_read_b128 a[64:67], v29 offset:42240                    // 000000001920: DBFEA500 4000001D
	ds_read_b128 a[68:71], v29 offset:42304                    // 000000001928: DBFEA540 4400001D
	s_waitcnt lgkmcnt(0)                                       // 000000001930: BF8CC07F

0000000000001934 <label_024D>:
	s_waitcnt vmcnt(0)                                         // 000000001934: BF8C0F70
	s_barrier                                                  // 000000001938: BF8A0000
	s_cmp_eq_i32 s7, 3                                         // 00000000193C: BF008307
	s_cbranch_scc0 label_0276                                  // 000000001940: BF840025
	ds_read_b128 a[0:3], v29                                   // 000000001944: DBFE0000 0000001D
	ds_read_b128 a[4:7], v29 offset:64                         // 00000000194C: DBFE0040 0400001D
	ds_read_b128 a[8:11], v29 offset:128                       // 000000001954: DBFE0080 0800001D
	ds_read_b128 a[12:15], v29 offset:192                      // 00000000195C: DBFE00C0 0C00001D
	ds_read_b128 a[16:19], v29 offset:256                      // 000000001964: DBFE0100 1000001D
	ds_read_b128 a[20:23], v29 offset:320                      // 00000000196C: DBFE0140 1400001D
	ds_read_b128 a[24:27], v29 offset:384                      // 000000001974: DBFE0180 1800001D
	ds_read_b128 a[28:31], v29 offset:448                      // 00000000197C: DBFE01C0 1C00001D
	ds_read_b128 a[32:35], v29 offset:512                      // 000000001984: DBFE0200 2000001D
	ds_read_b128 a[36:39], v29 offset:576                      // 00000000198C: DBFE0240 2400001D
	ds_read_b128 a[40:43], v29 offset:640                      // 000000001994: DBFE0280 2800001D
	ds_read_b128 a[44:47], v29 offset:704                      // 00000000199C: DBFE02C0 2C00001D
	ds_read_b128 a[48:51], v29 offset:768                      // 0000000019A4: DBFE0300 3000001D
	ds_read_b128 a[52:55], v29 offset:832                      // 0000000019AC: DBFE0340 3400001D
	ds_read_b128 a[56:59], v29 offset:896                      // 0000000019B4: DBFE0380 3800001D
	ds_read_b128 a[60:63], v29 offset:960                      // 0000000019BC: DBFE03C0 3C00001D
	ds_read_b128 a[64:67], v29 offset:1024                     // 0000000019C4: DBFE0400 4000001D
	ds_read_b128 a[68:71], v29 offset:1088                     // 0000000019CC: DBFE0440 4400001D
	s_waitcnt lgkmcnt(0)                                       // 0000000019D4: BF8CC07F

00000000000019d8 <label_0276>:
	s_waitcnt vmcnt(0)                                         // 0000000019D8: BF8C0F70
	s_barrier                                                  // 0000000019DC: BF8A0000
	s_mov_b32 s52, 0x7060302                                   // 0000000019E0: BEB400FF 07060302
	s_mov_b32 s53, 0x5040100                                   // 0000000019E8: BEB500FF 05040100
	s_mov_b32 s6, 0x3fb8aa3b                                   // 0000000019F0: BE8600FF 3FB8AA3B
	v_mov_b32_e32 v21, s6                                      // 0000000019F8: 7E2A0206
	v_mov_b32_e32 v20, s64                                     // 0000000019FC: 7E280240
	v_mul_f32_e32 v20, s6, v20                                 // 000000001A00: 0A282806
	v_rcp_f32_e32 v21, v21                                     // 000000001A04: 7E2A4515
	v_mov_b32_e32 v12, 0xff7fffff                              // 000000001A08: 7E1802FF FF7FFFFF
	v_mov_b32_e32 v13, 0xff7fffff                              // 000000001A10: 7E1A02FF FF7FFFFF
	v_mov_b32_e32 v16, 0                                       // 000000001A18: 7E200280
	v_mov_b32_e32 v17, 0                                       // 000000001A1C: 7E220280
	v_mov_b32_e32 v14, 0                                       // 000000001A20: 7E1C0280
	v_mov_b32_e32 v15, 0                                       // 000000001A24: 7E1E0280
	v_mov_b32_e32 v9, s68                                      // 000000001A28: 7E120244
	v_readfirstlane_b32 s5, v20                                // 000000001A2C: 7E0A0514
	v_readfirstlane_b32 s63, v21                               // 000000001A30: 7E7E0515
	v_and_b32_e32 v2, 15, v0                                   // 000000001A34: 2604008F
	v_lshlrev_b32_e32 v2, 2, v2                                // 000000001A38: 24040482
	s_mul_i32 s56, 0x100, s7                                   // 000000001A3C: 923807FF 00000100
	v_add_u32_e32 v2, s56, v2                                  // 000000001A44: 68040438
	v_lshlrev_b32_e32 v3, 2, v0                                // 000000001A48: 24060082
	s_mul_i32 s56, 0x100, s7                                   // 000000001A4C: 923807FF 00000100
	v_add_u32_e32 v3, s56, v3                                  // 000000001A54: 68060638
	v_and_b32_e32 v20, 31, v0                                  // 000000001A58: 2628009F
	v_lshlrev_b32_e32 v1, 2, v20                               // 000000001A5C: 24022882
	s_mul_i32 s34, s7, 0x1220                                  // 000000001A60: 9222FF07 00001220
	s_add_u32 s34, 0, s34                                      // 000000001A68: 80222280
	s_add_u32 s35, 0x900, s34                                  // 000000001A6C: 802322FF 00000900
	s_add_u32 s36, 0x4880, s34                                 // 000000001A74: 802422FF 00004880
	s_add_u32 s37, 0x4880, s35                                 // 000000001A7C: 802523FF 00004880
	s_waitcnt vmcnt(0)                                         // 000000001A84: BF8C0F70
	v_mul_u32_u24_dpp v18, v10, v9 row_newbcast:0 row_mask:0xf bank_mask:0xf// 000000001A88: 102412FA FF01500A
	v_mul_u32_u24_dpp v19, v10, v9 row_newbcast:8 row_mask:0xf bank_mask:0xf// 000000001A90: 102612FA FF01580A
	v_add_u32_e32 v18, v18, v1                                 // 000000001A98: 68240312
	v_add_u32_e32 v19, v19, v1                                 // 000000001A9C: 68260313
	s_mov_b32 m0, s34                                          // 000000001AA0: BEFC0022
	buffer_load_dword v18, s[20:23], 0 offen lds               // 000000001AA4: E0511000 80050012
	s_add_u32 m0, 0, s35                                       // 000000001AAC: 807C2380
	buffer_load_dword v19, s[20:23], 0 offen lds               // 000000001AB0: E0511000 80050013
	s_add_u32 m0, 0x80, s34                                    // 000000001AB8: 807C22FF 00000080
	buffer_load_dword v18, s[20:23], 0 offen offset:128 lds    // 000000001AC0: E0511080 80050012
	s_add_u32 m0, 0x80, s35                                    // 000000001AC8: 807C23FF 00000080
	buffer_load_dword v19, s[20:23], 0 offen offset:128 lds    // 000000001AD0: E0511080 80050013
	s_add_u32 m0, 0x100, s34                                   // 000000001AD8: 807C22FF 00000100
	buffer_load_dword v18, s[20:23], 0 offen offset:256 lds    // 000000001AE0: E0511100 80050012
	s_add_u32 m0, 0x100, s35                                   // 000000001AE8: 807C23FF 00000100
	buffer_load_dword v19, s[20:23], 0 offen offset:256 lds    // 000000001AF0: E0511100 80050013
	s_add_u32 m0, 0x180, s34                                   // 000000001AF8: 807C22FF 00000180
	buffer_load_dword v18, s[20:23], 0 offen offset:384 lds    // 000000001B00: E0511180 80050012
	s_add_u32 m0, 0x180, s35                                   // 000000001B08: 807C23FF 00000180
	buffer_load_dword v19, s[20:23], 0 offen offset:384 lds    // 000000001B10: E0511180 80050013
	s_add_u32 m0, 0x200, s34                                   // 000000001B18: 807C22FF 00000200
	buffer_load_dword v18, s[20:23], 0 offen offset:512 lds    // 000000001B20: E0511200 80050012
	s_add_u32 m0, 0x200, s35                                   // 000000001B28: 807C23FF 00000200
	buffer_load_dword v19, s[20:23], 0 offen offset:512 lds    // 000000001B30: E0511200 80050013
	s_add_u32 m0, 0x280, s34                                   // 000000001B38: 807C22FF 00000280
	buffer_load_dword v18, s[20:23], 0 offen offset:640 lds    // 000000001B40: E0511280 80050012
	s_add_u32 m0, 0x280, s35                                   // 000000001B48: 807C23FF 00000280
	buffer_load_dword v19, s[20:23], 0 offen offset:640 lds    // 000000001B50: E0511280 80050013
	s_add_u32 m0, 0x300, s34                                   // 000000001B58: 807C22FF 00000300
	buffer_load_dword v18, s[20:23], 0 offen offset:768 lds    // 000000001B60: E0511300 80050012
	s_add_u32 m0, 0x300, s35                                   // 000000001B68: 807C23FF 00000300
	buffer_load_dword v19, s[20:23], 0 offen offset:768 lds    // 000000001B70: E0511300 80050013
	s_add_u32 m0, 0x380, s34                                   // 000000001B78: 807C22FF 00000380
	buffer_load_dword v18, s[20:23], 0 offen offset:896 lds    // 000000001B80: E0511380 80050012
	s_add_u32 m0, 0x380, s35                                   // 000000001B88: 807C23FF 00000380
	buffer_load_dword v19, s[20:23], 0 offen offset:896 lds    // 000000001B90: E0511380 80050013
	s_add_u32 m0, 0x400, s34                                   // 000000001B98: 807C22FF 00000400
	buffer_load_dword v18, s[20:23], 0 offen offset:1024 lds   // 000000001BA0: E0511400 80050012
	s_add_u32 m0, 0x400, s35                                   // 000000001BA8: 807C23FF 00000400
	buffer_load_dword v19, s[20:23], 0 offen offset:1024 lds   // 000000001BB0: E0511400 80050013
	s_add_u32 m0, 0x480, s34                                   // 000000001BB8: 807C22FF 00000480
	buffer_load_dword v10, v8, s[24:27], 0 offen               // 000000001BC0: E0501000 80060A08
	v_add_u32_e32 v8, s73, v8                                  // 000000001BC8: 68101049
	v_mov_b32_e32 v40, 0                                       // 000000001BCC: 7E500280
	v_mov_b32_e32 v41, 0                                       // 000000001BD0: 7E520280
	v_mov_b32_e32 v42, 0                                       // 000000001BD4: 7E540280
	v_mov_b32_e32 v43, 0                                       // 000000001BD8: 7E560280
	v_mov_b32_e32 v44, 0                                       // 000000001BDC: 7E580280
	v_mov_b32_e32 v45, 0                                       // 000000001BE0: 7E5A0280
	v_mov_b32_e32 v46, 0                                       // 000000001BE4: 7E5C0280
	v_mov_b32_e32 v47, 0                                       // 000000001BE8: 7E5E0280
	v_mov_b32_e32 v48, 0                                       // 000000001BEC: 7E600280
	v_mov_b32_e32 v49, 0                                       // 000000001BF0: 7E620280
	v_mov_b32_e32 v50, 0                                       // 000000001BF4: 7E640280
	v_mov_b32_e32 v51, 0                                       // 000000001BF8: 7E660280
	v_mov_b32_e32 v52, 0                                       // 000000001BFC: 7E680280
	v_mov_b32_e32 v53, 0                                       // 000000001C00: 7E6A0280
	v_mov_b32_e32 v54, 0                                       // 000000001C04: 7E6C0280
	v_mov_b32_e32 v55, 0                                       // 000000001C08: 7E6E0280
	v_mov_b32_e32 v56, 0                                       // 000000001C0C: 7E700280
	v_mov_b32_e32 v57, 0                                       // 000000001C10: 7E720280
	v_mov_b32_e32 v58, 0                                       // 000000001C14: 7E740280
	v_mov_b32_e32 v59, 0                                       // 000000001C18: 7E760280
	v_mov_b32_e32 v60, 0                                       // 000000001C1C: 7E780280
	v_mov_b32_e32 v61, 0                                       // 000000001C20: 7E7A0280
	v_mov_b32_e32 v62, 0                                       // 000000001C24: 7E7C0280
	v_mov_b32_e32 v63, 0                                       // 000000001C28: 7E7E0280
	v_mov_b32_e32 v64, 0                                       // 000000001C2C: 7E800280
	v_mov_b32_e32 v65, 0                                       // 000000001C30: 7E820280
	v_mov_b32_e32 v66, 0                                       // 000000001C34: 7E840280
	v_mov_b32_e32 v67, 0                                       // 000000001C38: 7E860280
	v_mov_b32_e32 v68, 0                                       // 000000001C3C: 7E880280
	v_mov_b32_e32 v69, 0                                       // 000000001C40: 7E8A0280
	v_mov_b32_e32 v70, 0                                       // 000000001C44: 7E8C0280
	v_mov_b32_e32 v71, 0                                       // 000000001C48: 7E8E0280
	v_mov_b32_e32 v72, 0                                       // 000000001C4C: 7E900280
	v_mov_b32_e32 v73, 0                                       // 000000001C50: 7E920280
	v_mov_b32_e32 v74, 0                                       // 000000001C54: 7E940280
	v_mov_b32_e32 v75, 0                                       // 000000001C58: 7E960280
	v_mov_b32_e32 v76, 0                                       // 000000001C5C: 7E980280
	v_mov_b32_e32 v77, 0                                       // 000000001C60: 7E9A0280
	v_mov_b32_e32 v78, 0                                       // 000000001C64: 7E9C0280
	v_mov_b32_e32 v79, 0                                       // 000000001C68: 7E9E0280
	v_mov_b32_e32 v80, 0                                       // 000000001C6C: 7EA00280
	v_mov_b32_e32 v81, 0                                       // 000000001C70: 7EA20280
	v_mov_b32_e32 v82, 0                                       // 000000001C74: 7EA40280
	v_mov_b32_e32 v83, 0                                       // 000000001C78: 7EA60280
	v_mov_b32_e32 v84, 0                                       // 000000001C7C: 7EA80280
	v_mov_b32_e32 v85, 0                                       // 000000001C80: 7EAA0280
	v_mov_b32_e32 v86, 0                                       // 000000001C84: 7EAC0280
	v_mov_b32_e32 v87, 0                                       // 000000001C88: 7EAE0280
	v_mov_b32_e32 v88, 0                                       // 000000001C8C: 7EB00280
	v_mov_b32_e32 v89, 0                                       // 000000001C90: 7EB20280
	v_mov_b32_e32 v90, 0                                       // 000000001C94: 7EB40280
	v_mov_b32_e32 v91, 0                                       // 000000001C98: 7EB60280
	v_mov_b32_e32 v92, 0                                       // 000000001C9C: 7EB80280
	v_mov_b32_e32 v93, 0                                       // 000000001CA0: 7EBA0280
	v_mov_b32_e32 v94, 0                                       // 000000001CA4: 7EBC0280
	v_mov_b32_e32 v95, 0                                       // 000000001CA8: 7EBE0280
	v_mov_b32_e32 v96, 0                                       // 000000001CAC: 7EC00280
	v_mov_b32_e32 v97, 0                                       // 000000001CB0: 7EC20280
	v_mov_b32_e32 v98, 0                                       // 000000001CB4: 7EC40280
	v_mov_b32_e32 v99, 0                                       // 000000001CB8: 7EC60280
	v_mov_b32_e32 v100, 0                                      // 000000001CBC: 7EC80280
	v_mov_b32_e32 v101, 0                                      // 000000001CC0: 7ECA0280
	v_mov_b32_e32 v102, 0                                      // 000000001CC4: 7ECC0280
	v_mov_b32_e32 v103, 0                                      // 000000001CC8: 7ECE0280
	v_mov_b32_e32 v104, 0                                      // 000000001CCC: 7ED00280
	v_mov_b32_e32 v105, 0                                      // 000000001CD0: 7ED20280
	v_mov_b32_e32 v106, 0                                      // 000000001CD4: 7ED40280
	v_mov_b32_e32 v107, 0                                      // 000000001CD8: 7ED60280
	v_mov_b32_e32 v108, 0                                      // 000000001CDC: 7ED80280
	v_mov_b32_e32 v109, 0                                      // 000000001CE0: 7EDA0280
	v_mov_b32_e32 v110, 0                                      // 000000001CE4: 7EDC0280
	v_mov_b32_e32 v111, 0                                      // 000000001CE8: 7EDE0280
	v_mov_b32_e32 v112, 0                                      // 000000001CEC: 7EE00280
	v_mov_b32_e32 v113, 0                                      // 000000001CF0: 7EE20280
	v_mov_b32_e32 v114, 0                                      // 000000001CF4: 7EE40280
	v_mov_b32_e32 v115, 0                                      // 000000001CF8: 7EE60280
	v_mov_b32_e32 v116, 0                                      // 000000001CFC: 7EE80280
	v_mov_b32_e32 v117, 0                                      // 000000001D00: 7EEA0280
	v_mov_b32_e32 v118, 0                                      // 000000001D04: 7EEC0280
	v_mov_b32_e32 v119, 0                                      // 000000001D08: 7EEE0280
	v_mov_b32_e32 v120, 0                                      // 000000001D0C: 7EF00280
	v_mov_b32_e32 v121, 0                                      // 000000001D10: 7EF20280
	v_mov_b32_e32 v122, 0                                      // 000000001D14: 7EF40280
	v_mov_b32_e32 v123, 0                                      // 000000001D18: 7EF60280
	v_mov_b32_e32 v124, 0                                      // 000000001D1C: 7EF80280
	v_mov_b32_e32 v125, 0                                      // 000000001D20: 7EFA0280
	v_mov_b32_e32 v126, 0                                      // 000000001D24: 7EFC0280
	v_mov_b32_e32 v127, 0                                      // 000000001D28: 7EFE0280
	v_mov_b32_e32 v128, 0                                      // 000000001D2C: 7F000280
	v_mov_b32_e32 v129, 0                                      // 000000001D30: 7F020280
	v_mov_b32_e32 v130, 0                                      // 000000001D34: 7F040280
	v_mov_b32_e32 v131, 0                                      // 000000001D38: 7F060280
	v_mov_b32_e32 v132, 0                                      // 000000001D3C: 7F080280
	v_mov_b32_e32 v133, 0                                      // 000000001D40: 7F0A0280
	v_mov_b32_e32 v134, 0                                      // 000000001D44: 7F0C0280
	v_mov_b32_e32 v135, 0                                      // 000000001D48: 7F0E0280
	v_mov_b32_e32 v136, 0                                      // 000000001D4C: 7F100280
	v_mov_b32_e32 v137, 0                                      // 000000001D50: 7F120280
	v_mov_b32_e32 v138, 0                                      // 000000001D54: 7F140280
	v_mov_b32_e32 v139, 0                                      // 000000001D58: 7F160280
	v_mov_b32_e32 v140, 0                                      // 000000001D5C: 7F180280
	v_mov_b32_e32 v141, 0                                      // 000000001D60: 7F1A0280
	v_mov_b32_e32 v142, 0                                      // 000000001D64: 7F1C0280
	v_mov_b32_e32 v143, 0                                      // 000000001D68: 7F1E0280
	v_mov_b32_e32 v144, 0                                      // 000000001D6C: 7F200280
	v_mov_b32_e32 v145, 0                                      // 000000001D70: 7F220280
	v_mov_b32_e32 v146, 0                                      // 000000001D74: 7F240280
	v_mov_b32_e32 v147, 0                                      // 000000001D78: 7F260280
	v_mov_b32_e32 v148, 0                                      // 000000001D7C: 7F280280
	v_mov_b32_e32 v149, 0                                      // 000000001D80: 7F2A0280
	v_mov_b32_e32 v150, 0                                      // 000000001D84: 7F2C0280
	v_mov_b32_e32 v151, 0                                      // 000000001D88: 7F2E0280
	v_mov_b32_e32 v152, 0                                      // 000000001D8C: 7F300280
	v_mov_b32_e32 v153, 0                                      // 000000001D90: 7F320280
	v_mov_b32_e32 v154, 0                                      // 000000001D94: 7F340280
	v_mov_b32_e32 v155, 0                                      // 000000001D98: 7F360280
	v_mov_b32_e32 v156, 0                                      // 000000001D9C: 7F380280
	v_mov_b32_e32 v157, 0                                      // 000000001DA0: 7F3A0280
	v_mov_b32_e32 v158, 0                                      // 000000001DA4: 7F3C0280
	v_mov_b32_e32 v159, 0                                      // 000000001DA8: 7F3E0280
	v_mov_b32_e32 v160, 0                                      // 000000001DAC: 7F400280
	v_mov_b32_e32 v161, 0                                      // 000000001DB0: 7F420280
	v_mov_b32_e32 v162, 0                                      // 000000001DB4: 7F440280
	v_mov_b32_e32 v163, 0                                      // 000000001DB8: 7F460280
	v_mov_b32_e32 v164, 0                                      // 000000001DBC: 7F480280
	v_mov_b32_e32 v165, 0                                      // 000000001DC0: 7F4A0280
	v_mov_b32_e32 v166, 0                                      // 000000001DC4: 7F4C0280
	v_mov_b32_e32 v167, 0                                      // 000000001DC8: 7F4E0280
	v_lshrrev_b32_e32 v20, 4, v0                               // 000000001DCC: 20280084
	v_mul_i32_i24_e32 v21, 4, v20                              // 000000001DD0: 0C2A2884
	v_and_b32_e32 v20, 15, v0                                  // 000000001DD4: 2628008F
	v_and_b32_e32 v22, 3, v20                                  // 000000001DD8: 262C2883
	v_mul_i32_i24_e32 v22, 0x488, v22                          // 000000001DDC: 0C2C2CFF 00000488
	v_add_u32_e32 v4, v22, v21                                 // 000000001DE4: 68082B16
	v_lshrrev_b32_e32 v20, 2, v20                              // 000000001DE8: 20282882
	v_and_b32_e32 v21, 1, v20                                  // 000000001DEC: 262A2881
	v_mul_i32_i24_e32 v21, 32, v21                             // 000000001DF0: 0C2A2AA0
	v_add_u32_e32 v4, v4, v21                                  // 000000001DF4: 68082B04
	v_and_b32_e32 v21, 2, v20                                  // 000000001DF8: 262A2882
	v_mul_i32_i24_e32 v21, 0x120, v21                          // 000000001DFC: 0C2A2AFF 00000120
	v_add_u32_e32 v4, v4, v21                                  // 000000001E04: 68082B04
	v_lshlrev_b32_e32 v4, 2, v4                                // 000000001E08: 24080882
	v_lshrrev_b32_e32 v20, 4, v0                               // 000000001E0C: 20280084
	v_and_b32_e32 v21, 1, v20                                  // 000000001E10: 262A2881
	v_mul_i32_i24_e32 v5, 32, v21                              // 000000001E14: 0C0A2AA0
	v_and_b32_e32 v21, 2, v20                                  // 000000001E18: 262A2882
	v_mul_i32_i24_e32 v21, 0x120, v21                          // 000000001E1C: 0C2A2AFF 00000120
	v_add_u32_e32 v5, v5, v21                                  // 000000001E24: 680A2B05
	v_and_b32_e32 v20, 15, v0                                  // 000000001E28: 2628008F
	v_mul_i32_i24_e32 v21, 2, v20                              // 000000001E2C: 0C2A2882
	v_add_u32_e32 v5, v5, v21                                  // 000000001E30: 680A2B05
	s_mul_i32 s56, 64, s7                                      // 000000001E34: 923807C0
	v_add_u32_e64 v5, v5, s56                                  // 000000001E38: D1340005 00007105
	v_lshlrev_b32_e32 v5, 2, v5                                // 000000001E40: 240A0A82
	v_lshlrev_b32_e32 v6, 2, v0                                // 000000001E44: 240C0082
	s_mul_i32 s56, 0x200, s7                                   // 000000001E48: 923807FF 00000200
	v_add_u32_e64 v6, v6, s56                                  // 000000001E50: D1340006 00007106
	v_lshlrev_b32_e32 v6, 2, v6                                // 000000001E58: 240C0C82
	v_lshlrev_b32_e32 v7, 4, v0                                // 000000001E5C: 240E0084
	v_mul_u32_u24_dpp v18, v11, v9 row_newbcast:0 row_mask:0xf bank_mask:0xf// 000000001E60: 102412FA FF01500B
	v_mul_u32_u24_dpp v19, v11, v9 row_newbcast:8 row_mask:0xf bank_mask:0xf// 000000001E68: 102612FA FF01580B
	v_add_u32_e32 v18, v18, v1                                 // 000000001E70: 68240312
	v_add_u32_e32 v19, v19, v1                                 // 000000001E74: 68260313
	s_mov_b32 m0, s36                                          // 000000001E78: BEFC0024
	buffer_load_dword v11, v8, s[24:27], 0 offen               // 000000001E7C: E0501000 80060B08
	v_add_u32_e32 v8, s73, v8                                  // 000000001E84: 68101049
	buffer_load_dword v18, s[20:23], 0 offen lds               // 000000001E88: E0511000 80050012
	s_add_u32 m0, 0, s37                                       // 000000001E90: 807C2580
	buffer_load_dword v19, s[20:23], 0 offen lds               // 000000001E94: E0511000 80050013
	s_add_u32 m0, 0x80, s36                                    // 000000001E9C: 807C24FF 00000080
	buffer_load_dword v18, s[20:23], 0 offen offset:128 lds    // 000000001EA4: E0511080 80050012
	s_add_u32 m0, 0x80, s37                                    // 000000001EAC: 807C25FF 00000080
	buffer_load_dword v19, s[20:23], 0 offen offset:128 lds    // 000000001EB4: E0511080 80050013
	s_add_u32 m0, 0x100, s36                                   // 000000001EBC: 807C24FF 00000100
	buffer_load_dword v18, s[20:23], 0 offen offset:256 lds    // 000000001EC4: E0511100 80050012
	s_add_u32 m0, 0x100, s37                                   // 000000001ECC: 807C25FF 00000100
	buffer_load_dword v19, s[20:23], 0 offen offset:256 lds    // 000000001ED4: E0511100 80050013
	s_add_u32 m0, 0x180, s36                                   // 000000001EDC: 807C24FF 00000180
	buffer_load_dword v18, s[20:23], 0 offen offset:384 lds    // 000000001EE4: E0511180 80050012
	s_add_u32 m0, 0x180, s37                                   // 000000001EEC: 807C25FF 00000180
	buffer_load_dword v19, s[20:23], 0 offen offset:384 lds    // 000000001EF4: E0511180 80050013
	s_add_u32 m0, 0x200, s36                                   // 000000001EFC: 807C24FF 00000200
	buffer_load_dword v18, s[20:23], 0 offen offset:512 lds    // 000000001F04: E0511200 80050012
	s_add_u32 m0, 0x200, s37                                   // 000000001F0C: 807C25FF 00000200
	buffer_load_dword v19, s[20:23], 0 offen offset:512 lds    // 000000001F14: E0511200 80050013
	s_add_u32 m0, 0x280, s36                                   // 000000001F1C: 807C24FF 00000280
	buffer_load_dword v18, s[20:23], 0 offen offset:640 lds    // 000000001F24: E0511280 80050012
	s_add_u32 m0, 0x280, s37                                   // 000000001F2C: 807C25FF 00000280
	buffer_load_dword v19, s[20:23], 0 offen offset:640 lds    // 000000001F34: E0511280 80050013
	s_add_u32 m0, 0x300, s36                                   // 000000001F3C: 807C24FF 00000300
	buffer_load_dword v18, s[20:23], 0 offen offset:768 lds    // 000000001F44: E0511300 80050012
	s_add_u32 m0, 0x300, s37                                   // 000000001F4C: 807C25FF 00000300
	buffer_load_dword v19, s[20:23], 0 offen offset:768 lds    // 000000001F54: E0511300 80050013
	s_add_u32 m0, 0x380, s36                                   // 000000001F5C: 807C24FF 00000380
	buffer_load_dword v18, s[20:23], 0 offen offset:896 lds    // 000000001F64: E0511380 80050012
	s_add_u32 m0, 0x380, s37                                   // 000000001F6C: 807C25FF 00000380
	buffer_load_dword v19, s[20:23], 0 offen offset:896 lds    // 000000001F74: E0511380 80050013
	s_add_u32 m0, 0x400, s36                                   // 000000001F7C: 807C24FF 00000400
	buffer_load_dword v18, s[20:23], 0 offen offset:1024 lds   // 000000001F84: E0511400 80050012
	s_add_u32 m0, 0x400, s37                                   // 000000001F8C: 807C25FF 00000400
	buffer_load_dword v19, s[20:23], 0 offen offset:1024 lds   // 000000001F94: E0511400 80050013
	s_add_u32 m0, 0x480, s36                                   // 000000001F9C: 807C24FF 00000480
	s_waitcnt vmcnt(19) lgkmcnt(0)                             // 000000001FA4: BF8C4073
	s_barrier                                                  // 000000001FA8: BF8A0000
	v_mul_u32_u24_dpp v18, v10, v9 row_newbcast:0 row_mask:0xf bank_mask:0xf// 000000001FAC: 102412FA FF01500A
	v_mul_u32_u24_dpp v19, v10, v9 row_newbcast:8 row_mask:0xf bank_mask:0xf// 000000001FB4: 102612FA FF01580A
	v_add_u32_e32 v18, v18, v1                                 // 000000001FBC: 68240312
	v_add_u32_e32 v19, v19, v1                                 // 000000001FC0: 68260313
	s_mov_b32 m0, s34                                          // 000000001FC4: BEFC0022
	ds_read_b128 a[144:147], v4                                // 000000001FC8: DBFE0000 90000004
	ds_read_b128 a[148:151], v4 offset:64                      // 000000001FD0: DBFE0040 94000004
	ds_read_b128 a[152:155], v4 offset:256                     // 000000001FD8: DBFE0100 98000004
	ds_read_b128 a[156:159], v4 offset:320                     // 000000001FE0: DBFE0140 9C000004
	ds_read_b128 a[160:163], v4 offset:512                     // 000000001FE8: DBFE0200 A0000004
	ds_read_b128 a[164:167], v4 offset:576                     // 000000001FF0: DBFE0240 A4000004
	ds_read_b128 a[168:171], v4 offset:768                     // 000000001FF8: DBFE0300 A8000004
	ds_read_b128 a[172:175], v4 offset:832                     // 000000002000: DBFE0340 AC000004
	ds_read_b128 a[176:179], v4 offset:1024                    // 000000002008: DBFE0400 B0000004
	ds_read_b128 a[180:183], v4 offset:1088                    // 000000002010: DBFE0440 B4000004
	ds_read_b128 a[184:187], v4 offset:1280                    // 000000002018: DBFE0500 B8000004
	ds_read_b128 a[188:191], v4 offset:1344                    // 000000002020: DBFE0540 BC000004
	ds_read_b128 a[192:195], v4 offset:1536                    // 000000002028: DBFE0600 C0000004
	ds_read_b128 a[196:199], v4 offset:1600                    // 000000002030: DBFE0640 C4000004
	ds_read_b128 a[200:203], v4 offset:1792                    // 000000002038: DBFE0700 C8000004
	ds_read_b128 a[204:207], v4 offset:1856                    // 000000002040: DBFE0740 CC000004
	ds_read_b128 a[208:211], v4 offset:2048                    // 000000002048: DBFE0800 D0000004
	ds_read_b128 a[212:215], v4 offset:2112                    // 000000002050: DBFE0840 D4000004
	ds_read_b64 v[20:21], v5                                   // 000000002058: D8EC0000 14000005
	ds_read_b64 v[22:23], v5 offset:4640                       // 000000002060: D8EC1220 16000005
	ds_read_b64 v[24:25], v5 offset:9280                       // 000000002068: D8EC2440 18000005
	ds_read_b64 v[26:27], v5 offset:13920                      // 000000002070: D8EC3660 1A000005
	s_waitcnt lgkmcnt(0)                                       // 000000002078: BF8CC07F
	v_perm_b32 v168, v22, v20, s53                             // 00000000207C: D1ED00A8 00D62916
	v_perm_b32 v170, v22, v20, s52                             // 000000002084: D1ED00AA 00D22916
	v_perm_b32 v169, v26, v24, s53                             // 00000000208C: D1ED00A9 00D6311A
	v_perm_b32 v171, v26, v24, s52                             // 000000002094: D1ED00AB 00D2311A
	ds_write_b128 v6, v[168:171] offset:37120                  // 00000000209C: D9BE9100 0000A806
	v_perm_b32 v168, v23, v21, s53                             // 0000000020A4: D1ED00A8 00D62B17
	v_perm_b32 v170, v23, v21, s52                             // 0000000020AC: D1ED00AA 00D22B17
	v_perm_b32 v169, v27, v25, s53                             // 0000000020B4: D1ED00A9 00D6331B
	v_perm_b32 v171, v27, v25, s52                             // 0000000020BC: D1ED00AB 00D2331B
	ds_write_b128 v6, v[168:171] offset:38144                  // 0000000020C4: D9BE9500 0000A806
	ds_read_b64 v[20:21], v5 offset:1024                       // 0000000020CC: D8EC0400 14000005
	ds_read_b64 v[22:23], v5 offset:5664                       // 0000000020D4: D8EC1620 16000005
	ds_read_b64 v[24:25], v5 offset:10304                      // 0000000020DC: D8EC2840 18000005
	ds_read_b64 v[26:27], v5 offset:14944                      // 0000000020E4: D8EC3A60 1A000005
	s_waitcnt lgkmcnt(0)                                       // 0000000020EC: BF8CC07F
	v_perm_b32 v168, v22, v20, s53                             // 0000000020F0: D1ED00A8 00D62916
	v_perm_b32 v170, v22, v20, s52                             // 0000000020F8: D1ED00AA 00D22916
	v_perm_b32 v169, v26, v24, s53                             // 000000002100: D1ED00A9 00D6311A
	v_perm_b32 v171, v26, v24, s52                             // 000000002108: D1ED00AB 00D2311A
	ds_write_b128 v6, v[168:171] offset:45312                  // 000000002110: D9BEB100 0000A806
	v_perm_b32 v168, v23, v21, s53                             // 000000002118: D1ED00A8 00D62B17
	v_perm_b32 v170, v23, v21, s52                             // 000000002120: D1ED00AA 00D22B17
	v_perm_b32 v169, v27, v25, s53                             // 000000002128: D1ED00A9 00D6331B
	v_perm_b32 v171, v27, v25, s52                             // 000000002130: D1ED00AB 00D2331B
	ds_write_b128 v6, v[168:171] offset:46336                  // 000000002138: D9BEB500 0000A806
	s_nop 0                                                    // 000000002140: BF800000
	s_cmp_lt_u32 s71, 1                                        // 000000002144: BF0A8147
	s_cbranch_scc1 label_0DEC                                  // 000000002148: BF850999
	s_cmp_lt_i32 s7, 2                                         // 00000000214C: BF048207
	s_cbranch_scc0 label_0921                                  // 000000002150: BF8404CC

0000000000002154 <label_0455>:
	s_waitcnt lgkmcnt(4)                                       // 000000002154: BF8CC47F
	v_mfma_f32_16x16x16_bf16 v[32:35], a[144:145], a[0:1], 0   // 000000002158: D3E10020 1A020190
	ds_read_b128 a[176:179], v4 offset:1024                    // 000000002160: DBFE0400 B0000004
	ds_read_b128 a[180:183], v4 offset:1088                    // 000000002168: DBFE0440 B4000004
	v_mfma_f32_16x16x16_bf16 v[32:35], a[146:147], a[2:3], v[32:35]// 000000002170: D3E10020 1C820592
	buffer_load_dword v10, v8, s[24:27], 0 offen               // 000000002178: E0501000 80060A08
	v_mfma_f32_16x16x16_bf16 v[32:35], a[148:149], a[4:5], v[32:35]// 000000002180: D3E10020 1C820994
	v_mfma_f32_16x16x16_bf16 v[32:35], a[150:151], a[6:7], v[32:35]// 000000002188: D3E10020 1C820D96
	v_mfma_f32_16x16x16_bf16 v[32:35], a[152:153], a[8:9], v[32:35]// 000000002190: D3E10020 1C821198
	ds_read_b128 a[184:187], v4 offset:1280                    // 000000002198: DBFE0500 B8000004
	ds_read_b128 a[188:191], v4 offset:1344                    // 0000000021A0: DBFE0540 BC000004
	v_mfma_f32_16x16x16_bf16 v[32:35], a[154:155], a[10:11], v[32:35]// 0000000021A8: D3E10020 1C82159A
	v_mfma_f32_16x16x16_bf16 v[32:35], a[156:157], a[12:13], v[32:35]// 0000000021B0: D3E10020 1C82199C
	v_mfma_f32_16x16x16_bf16 v[32:35], a[158:159], a[14:15], v[32:35]// 0000000021B8: D3E10020 1C821D9E
	s_waitcnt lgkmcnt(4)                                       // 0000000021C0: BF8CC47F
	v_mfma_f32_16x16x16_bf16 v[32:35], a[160:161], a[16:17], v[32:35]// 0000000021C4: D3E10020 1C8221A0
	ds_read_b128 a[192:195], v4 offset:1536                    // 0000000021CC: DBFE0600 C0000004
	ds_read_b128 a[196:199], v4 offset:1600                    // 0000000021D4: DBFE0640 C4000004
	v_mfma_f32_16x16x16_bf16 v[32:35], a[162:163], a[18:19], v[32:35]// 0000000021DC: D3E10020 1C8225A2
	v_mfma_f32_16x16x16_bf16 v[32:35], a[164:165], a[20:21], v[32:35]// 0000000021E4: D3E10020 1C8229A4
	v_mfma_f32_16x16x16_bf16 v[32:35], a[166:167], a[22:23], v[32:35]// 0000000021EC: D3E10020 1C822DA6
	v_mfma_f32_16x16x16_bf16 v[32:35], a[168:169], a[24:25], v[32:35]// 0000000021F4: D3E10020 1C8231A8
	ds_read_b128 a[200:203], v4 offset:1792                    // 0000000021FC: DBFE0700 C8000004
	ds_read_b128 a[204:207], v4 offset:1856                    // 000000002204: DBFE0740 CC000004
	v_mfma_f32_16x16x16_bf16 v[32:35], a[170:171], a[26:27], v[32:35]// 00000000220C: D3E10020 1C8235AA
	v_mfma_f32_16x16x16_bf16 v[32:35], a[172:173], a[28:29], v[32:35]// 000000002214: D3E10020 1C8239AC
	v_mfma_f32_16x16x16_bf16 v[32:35], a[174:175], a[30:31], v[32:35]// 00000000221C: D3E10020 1C823DAE
	s_waitcnt lgkmcnt(4)                                       // 000000002224: BF8CC47F
	s_barrier                                                  // 000000002228: BF8A0000
	v_mfma_f32_16x16x16_bf16 v[32:35], a[176:177], a[32:33], v[32:35]// 00000000222C: D3E10020 1C8241B0
	ds_read_b128 a[208:211], v4 offset:2048                    // 000000002234: DBFE0800 D0000004
	ds_read_b128 a[212:215], v4 offset:2112                    // 00000000223C: DBFE0840 D4000004
	v_mfma_f32_16x16x16_bf16 v[32:35], a[178:179], a[34:35], v[32:35]// 000000002244: D3E10020 1C8245B2
	v_mfma_f32_16x16x16_bf16 v[32:35], a[180:181], a[36:37], v[32:35]// 00000000224C: D3E10020 1C8249B4
	v_perm_b32 v168, v22, v20, s53                             // 000000002254: D1ED00A8 00D62916
	v_perm_b32 v170, v22, v20, s52                             // 00000000225C: D1ED00AA 00D22916
	v_perm_b32 v169, v26, v24, s53                             // 000000002264: D1ED00A9 00D6311A
	v_perm_b32 v171, v26, v24, s52                             // 00000000226C: D1ED00AB 00D2311A
	v_mfma_f32_16x16x16_bf16 v[32:35], a[182:183], a[38:39], v[32:35]// 000000002274: D3E10020 1C824DB6
	buffer_load_dword v18, s[20:23], 0 offen lds               // 00000000227C: E0511000 80050012
	s_add_u32 m0, 0, s35                                       // 000000002284: 807C2380
	v_mfma_f32_16x16x16_bf16 v[32:35], a[184:185], a[40:41], v[32:35]// 000000002288: D3E10020 1C8251B8
	ds_write_b128 v6, v[168:171] offset:45312                  // 000000002290: D9BEB100 0000A806
	v_mfma_f32_16x16x16_bf16 v[32:35], a[186:187], a[42:43], v[32:35]// 000000002298: D3E10020 1C8255BA
	buffer_load_dword v19, s[20:23], 0 offen lds               // 0000000022A0: E0511000 80050013
	s_add_u32 m0, 0x80, s34                                    // 0000000022A8: 807C22FF 00000080
	v_mfma_f32_16x16x16_bf16 v[32:35], a[188:189], a[44:45], v[32:35]// 0000000022B0: D3E10020 1C8259BC
	v_perm_b32 v168, v23, v21, s53                             // 0000000022B8: D1ED00A8 00D62B17
	v_perm_b32 v170, v23, v21, s52                             // 0000000022C0: D1ED00AA 00D22B17
	v_perm_b32 v169, v27, v25, s53                             // 0000000022C8: D1ED00A9 00D6331B
	v_perm_b32 v171, v27, v25, s52                             // 0000000022D0: D1ED00AB 00D2331B
	v_mfma_f32_16x16x16_bf16 v[32:35], a[190:191], a[46:47], v[32:35]// 0000000022D8: D3E10020 1C825DBE
	buffer_load_dword v18, s[20:23], 0 offen offset:128 lds    // 0000000022E0: E0511080 80050012
	s_add_u32 m0, 0x80, s35                                    // 0000000022E8: 807C23FF 00000080
	s_waitcnt lgkmcnt(1)                                       // 0000000022F0: BF8CC17F
	v_mfma_f32_16x16x16_bf16 v[32:35], a[192:193], a[48:49], v[32:35]// 0000000022F4: D3E10020 1C8261C0
	ds_write_b128 v6, v[168:171] offset:46336                  // 0000000022FC: D9BEB500 0000A806
	v_mfma_f32_16x16x16_bf16 v[32:35], a[194:195], a[50:51], v[32:35]// 000000002304: D3E10020 1C8265C2
	buffer_load_dword v19, s[20:23], 0 offen offset:128 lds    // 00000000230C: E0511080 80050013
	s_add_u32 m0, 0x100, s34                                   // 000000002314: 807C22FF 00000100
	v_mfma_f32_16x16x16_bf16 v[32:35], a[196:197], a[52:53], v[32:35]// 00000000231C: D3E10020 1C8269C4
	v_mfma_f32_16x16x16_bf16 v[32:35], a[198:199], a[54:55], v[32:35]// 000000002324: D3E10020 1C826DC6
	buffer_load_dword v18, s[20:23], 0 offen offset:256 lds    // 00000000232C: E0511100 80050012
	s_add_u32 m0, 0x100, s35                                   // 000000002334: 807C23FF 00000100
	v_mfma_f32_16x16x16_bf16 v[32:35], a[200:201], a[56:57], v[32:35]// 00000000233C: D3E10020 1C8271C8
	v_mfma_f32_16x16x16_bf16 v[32:35], a[202:203], a[58:59], v[32:35]// 000000002344: D3E10020 1C8275CA
	buffer_load_dword v19, s[20:23], 0 offen offset:256 lds    // 00000000234C: E0511100 80050013
	s_add_u32 m0, 0x180, s34                                   // 000000002354: 807C22FF 00000180
	v_mfma_f32_16x16x16_bf16 v[32:35], a[204:205], a[60:61], v[32:35]// 00000000235C: D3E10020 1C8279CC
	v_mfma_f32_16x16x16_bf16 v[32:35], a[206:207], a[62:63], v[32:35]// 000000002364: D3E10020 1C827DCE
	buffer_load_dword v18, s[20:23], 0 offen offset:384 lds    // 00000000236C: E0511180 80050012
	s_add_u32 m0, 0x180, s35                                   // 000000002374: 807C23FF 00000180
	v_mfma_f32_16x16x16_bf16 v[32:35], a[208:209], a[64:65], v[32:35]// 00000000237C: D3E10020 1C8281D0
	v_mfma_f32_16x16x16_bf16 v[32:35], a[210:211], a[66:67], v[32:35]// 000000002384: D3E10020 1C8285D2
	buffer_load_dword v19, s[20:23], 0 offen offset:384 lds    // 00000000238C: E0511180 80050013
	s_add_u32 m0, 0x200, s34                                   // 000000002394: 807C22FF 00000200
	v_mfma_f32_16x16x16_bf16 v[32:35], a[212:213], a[68:69], v[32:35]// 00000000239C: D3E10020 1C8289D4
	v_mfma_f32_16x16x16_bf16 v[32:35], a[214:215], a[70:71], v[32:35]// 0000000023A4: D3E10020 1C828DD6
	buffer_load_dword v18, s[20:23], 0 offen offset:512 lds    // 0000000023AC: E0511200 80050012
	s_add_u32 m0, 0x200, s35                                   // 0000000023B4: 807C23FF 00000200
	v_add_u32_e32 v8, s73, v8                                  // 0000000023BC: 68101049
	s_cmp_le_i32 s83, s82                                      // 0000000023C0: BF055253
	s_cbranch_scc1 label_0516                                  // 0000000023C4: BF850024
	v_mov_b32_e32 v25, 0xff800000                              // 0000000023C8: 7E3202FF FF800000
	s_add_u32 s57, s82, 0                                      // 0000000023D0: 80398052
	v_mov_b32_e32 v24, s57                                     // 0000000023D4: 7E300239
	v_add_u32_e32 v24, s7, v24                                 // 0000000023D8: 68303007
	s_sub_u32 s56, s83, 15                                     // 0000000023DC: 80B88F53
	v_lshrrev_b32_e32 v20, 4, v0                               // 0000000023E0: 20280084
	v_mul_i32_i24_e32 v20, 4, v20                              // 0000000023E4: 0C282884
	v_add_u32_e32 v20, s56, v20                                // 0000000023E8: 68282838
	v_add_u32_e32 v21, 1, v20                                  // 0000000023EC: 682A2881
	v_add_u32_e32 v22, 2, v20                                  // 0000000023F0: 682C2882
	v_add_u32_e32 v23, 3, v20                                  // 0000000023F4: 682E2883
	v_cmp_le_u32_e64 s[38:39], v20, v24                        // 0000000023F8: D0CB0026 00023114
	v_add_u32_e32 v20, 64, v20                                 // 000000002400: 682828C0
	s_nop 0                                                    // 000000002404: BF800000
	v_cndmask_b32_e64 v32, v25, v32, s[38:39]                  // 000000002408: D1000020 009A4119
	v_cmp_le_u32_e64 s[38:39], v21, v24                        // 000000002410: D0CB0026 00023115
	v_add_u32_e32 v21, 64, v21                                 // 000000002418: 682A2AC0
	s_nop 0                                                    // 00000000241C: BF800000
	v_cndmask_b32_e64 v33, v25, v33, s[38:39]                  // 000000002420: D1000021 009A4319
	v_cmp_le_u32_e64 s[38:39], v22, v24                        // 000000002428: D0CB0026 00023116
	v_add_u32_e32 v22, 64, v22                                 // 000000002430: 682C2CC0
	s_nop 0                                                    // 000000002434: BF800000
	v_cndmask_b32_e64 v34, v25, v34, s[38:39]                  // 000000002438: D1000022 009A4519
	v_cmp_le_u32_e64 s[38:39], v23, v24                        // 000000002440: D0CB0026 00023117
	v_add_u32_e32 v23, 64, v23                                 // 000000002448: 682E2EC0
	s_nop 0                                                    // 00000000244C: BF800000
	v_cndmask_b32_e64 v35, v25, v35, s[38:39]                  // 000000002450: D1000023 009A4719

0000000000002458 <label_0516>:
	s_waitcnt lgkmcnt(0)                                       // 000000002458: BF8CC07F
	s_barrier                                                  // 00000000245C: BF8A0000
	v_max3_f32 v24, v32, v33, v32                              // 000000002460: D1D30018 04824320
	v_max3_f32 v24, v34, v35, v24                              // 000000002468: D1D30018 04624722
	ds_write_b32 v3, v24 offset:53504                          // 000000002470: D81AD100 00001803
	buffer_load_dword v19, s[20:23], 0 offen offset:512 lds    // 000000002478: E0511200 80050013
	s_add_u32 m0, 0x280, s34                                   // 000000002480: 807C22FF 00000280
	buffer_load_dword v18, s[20:23], 0 offen offset:640 lds    // 000000002488: E0511280 80050012
	s_add_u32 m0, 0x280, s35                                   // 000000002490: 807C23FF 00000280
	s_waitcnt lgkmcnt(0)                                       // 000000002498: BF8CC07F
	ds_read_b32 v20, v2 offset:53504                           // 00000000249C: D86CD100 14000002
	ds_read_b32 v21, v2 offset:53568                           // 0000000024A4: D86CD140 15000002
	ds_read_b32 v22, v2 offset:53632                           // 0000000024AC: D86CD180 16000002
	ds_read_b32 v23, v2 offset:53696                           // 0000000024B4: D86CD1C0 17000002
	buffer_load_dword v19, s[20:23], 0 offen offset:640 lds    // 0000000024BC: E0511280 80050013
	s_add_u32 m0, 0x300, s34                                   // 0000000024C4: 807C22FF 00000300
	buffer_load_dword v18, s[20:23], 0 offen offset:768 lds    // 0000000024CC: E0511300 80050012
	s_add_u32 m0, 0x300, s35                                   // 0000000024D4: 807C23FF 00000300
	buffer_load_dword v19, s[20:23], 0 offen offset:768 lds    // 0000000024DC: E0511300 80050013
	s_add_u32 m0, 0x380, s34                                   // 0000000024E4: 807C22FF 00000380
	s_waitcnt lgkmcnt(0)                                       // 0000000024EC: BF8CC07F
	v_max3_f32 v24, v20, v21, v24                              // 0000000024F0: D1D30018 04622B14
	v_max3_f32 v24, v22, v23, v24                              // 0000000024F8: D1D30018 04622F16
	buffer_load_dword v18, s[20:23], 0 offen offset:896 lds    // 000000002500: E0511380 80050012
	s_add_u32 m0, 0x380, s35                                   // 000000002508: 807C23FF 00000380
	buffer_load_dword v19, s[20:23], 0 offen offset:896 lds    // 000000002510: E0511380 80050013
	s_add_u32 m0, 0x400, s34                                   // 000000002518: 807C22FF 00000400
	ds_read_b128 a[144:147], v7 offset:37120                   // 000000002520: DBFE9100 90000007
	ds_read_b128 a[148:151], v7 offset:38144                   // 000000002528: DBFE9500 94000007
	buffer_load_dword v18, s[20:23], 0 offen offset:1024 lds   // 000000002530: E0511400 80050012
	s_add_u32 m0, 0x400, s35                                   // 000000002538: 807C23FF 00000400
	ds_read_b128 a[152:155], v7 offset:39168                   // 000000002540: DBFE9900 98000007
	ds_read_b128 a[156:159], v7 offset:40192                   // 000000002548: DBFE9D00 9C000007
	buffer_load_dword v19, s[20:23], 0 offen offset:1024 lds   // 000000002550: E0511400 80050013
	s_add_u32 m0, 0x480, s34                                   // 000000002558: 807C22FF 00000480
	ds_read_b128 a[160:163], v7 offset:41216                   // 000000002560: DBFEA100 A0000007
	ds_read_b128 a[164:167], v7 offset:42240                   // 000000002568: DBFEA500 A4000007
	ds_read_b128 a[168:171], v7 offset:43264                   // 000000002570: DBFEA900 A8000007
	ds_read_b128 a[172:175], v7 offset:44288                   // 000000002578: DBFEAD00 AC000007
	v_mov_b32_e32 v25, 0xff7fffff                              // 000000002580: 7E3202FF FF7FFFFF
	v_cmp_eq_u32_e64 s[38:39], v25, v12                        // 000000002588: D0CA0026 00021919
	v_max_f32_e32 v20, v24, v12                                // 000000002590: 16281918
	v_sub_f32_e32 v16, v12, v20                                // 000000002594: 0420290C
	v_cndmask_b32_e64 v16, v16, 0, s[38:39]                    // 000000002598: D1000010 00990110
	v_mov_b32_e32 v12, v20                                     // 0000000025A0: 7E180314
	v_mul_f32_e32 v21, s5, v20                                 // 0000000025A4: 0A2A2805
	v_mul_f32_e32 v16, s5, v16                                 // 0000000025A8: 0A202005
	v_exp_f32_e32 v16, v16                                     // 0000000025AC: 7E204110
	v_fma_f32 v32, v32, s5, -v21                               // 0000000025B0: D1CB0020 84540B20
	v_fma_f32 v33, v33, s5, -v21                               // 0000000025B8: D1CB0021 84540B21
	v_fma_f32 v34, v34, s5, -v21                               // 0000000025C0: D1CB0022 84540B22
	v_fma_f32 v35, v35, s5, -v21                               // 0000000025C8: D1CB0023 84540B23
	v_exp_f32_e32 v32, v32                                     // 0000000025D0: 7E404120
	v_exp_f32_e32 v33, v33                                     // 0000000025D4: 7E424121
	v_exp_f32_e32 v34, v34                                     // 0000000025D8: 7E444122
	v_exp_f32_e32 v35, v35                                     // 0000000025DC: 7E464123
	v_mul_f32_e32 v14, v16, v14                                // 0000000025E0: 0A1C1D10
	v_mov_b32_e32 v22, v32                                     // 0000000025E4: 7E2C0320
	v_add_f32_e32 v22, v33, v22                                // 0000000025E8: 022C2D21
	v_add_f32_e32 v22, v34, v22                                // 0000000025EC: 022C2D22
	v_add_f32_e32 v22, v35, v22                                // 0000000025F0: 022C2D23
	v_add_f32_e32 v14, v22, v14                                // 0000000025F4: 021C1D16
	v_mov_b32_e32 v29, 0xffff0000                              // 0000000025F8: 7E3A02FF FFFF0000
	v_mov_b32_e32 v30, 0x7fff0000                              // 000000002600: 7E3C02FF 7FFF0000
	v_mov_b32_e32 v31, 0x7fff                                  // 000000002608: 7E3E02FF 00007FFF
	v_cmp_u_f32_e64 s[38:39], v32, v32                         // 000000002610: D0480026 00024120
	v_add3_u32 v28, v32, v31, 1                                // 000000002618: D1FF001C 02063F20
	v_cndmask_b32_e64 v20, v28, v30, s[38:39]                  // 000000002620: D1000014 009A3D1C
	v_cmp_u_f32_e64 s[38:39], v33, v33                         // 000000002628: D0480026 00024321
	v_add3_u32 v28, v33, v31, 1                                // 000000002630: D1FF001C 02063F21
	v_cndmask_b32_e64 v21, v28, v30, s[38:39]                  // 000000002638: D1000015 009A3D1C
	v_perm_b32 v32, v21, v20, s52                              // 000000002640: D1ED0020 00D22915
	v_cmp_u_f32_e64 s[38:39], v34, v34                         // 000000002648: D0480026 00024522
	v_add3_u32 v28, v34, v31, 1                                // 000000002650: D1FF001C 02063F22
	v_cndmask_b32_e64 v20, v28, v30, s[38:39]                  // 000000002658: D1000014 009A3D1C
	v_cmp_u_f32_e64 s[38:39], v35, v35                         // 000000002660: D0480026 00024723
	v_add3_u32 v28, v35, v31, 1                                // 000000002668: D1FF001C 02063F23
	v_cndmask_b32_e64 v21, v28, v30, s[38:39]                  // 000000002670: D1000015 009A3D1C
	v_perm_b32 v33, v21, v20, s52                              // 000000002678: D1ED0021 00D22915
	s_nop 2                                                    // 000000002680: BF800002
	s_add_u32 s83, s84, s83                                    // 000000002684: 80535354
	s_nop 0                                                    // 000000002688: BF800000
	v_mul_u32_u24_dpp v18, v11, v9 row_newbcast:0 row_mask:0xf bank_mask:0xf// 00000000268C: 102412FA FF01500B
	v_mul_u32_u24_dpp v19, v11, v9 row_newbcast:8 row_mask:0xf bank_mask:0xf// 000000002694: 102612FA FF01580B
	v_add_u32_e32 v18, v18, v1                                 // 00000000269C: 68240312
	v_add_u32_e32 v19, v19, v1                                 // 0000000026A0: 68260313
	s_mov_b32 m0, s36                                          // 0000000026A4: BEFC0024
	v_mov_b32_e32 v22, v16                                     // 0000000026A8: 7E2C0310
	v_mov_b32_e32 v23, v16                                     // 0000000026AC: 7E2E0310
	v_pk_mul_f32 v[40:41], v[22:23], v[40:41]                  // 0000000026B0: D3B14028 18025116
	v_pk_mul_f32 v[42:43], v[22:23], v[42:43]                  // 0000000026B8: D3B1402A 18025516
	v_pk_mul_f32 v[44:45], v[22:23], v[44:45]                  // 0000000026C0: D3B1402C 18025916
	v_pk_mul_f32 v[46:47], v[22:23], v[46:47]                  // 0000000026C8: D3B1402E 18025D16
	v_pk_mul_f32 v[48:49], v[22:23], v[48:49]                  // 0000000026D0: D3B14030 18026116
	v_pk_mul_f32 v[50:51], v[22:23], v[50:51]                  // 0000000026D8: D3B14032 18026516
	v_pk_mul_f32 v[52:53], v[22:23], v[52:53]                  // 0000000026E0: D3B14034 18026916
	v_pk_mul_f32 v[54:55], v[22:23], v[54:55]                  // 0000000026E8: D3B14036 18026D16
	v_pk_mul_f32 v[56:57], v[22:23], v[56:57]                  // 0000000026F0: D3B14038 18027116
	v_pk_mul_f32 v[58:59], v[22:23], v[58:59]                  // 0000000026F8: D3B1403A 18027516
	v_pk_mul_f32 v[60:61], v[22:23], v[60:61]                  // 000000002700: D3B1403C 18027916
	v_pk_mul_f32 v[62:63], v[22:23], v[62:63]                  // 000000002708: D3B1403E 18027D16
	v_pk_mul_f32 v[64:65], v[22:23], v[64:65]                  // 000000002710: D3B14040 18028116
	v_pk_mul_f32 v[66:67], v[22:23], v[66:67]                  // 000000002718: D3B14042 18028516
	v_pk_mul_f32 v[68:69], v[22:23], v[68:69]                  // 000000002720: D3B14044 18028916
	v_pk_mul_f32 v[70:71], v[22:23], v[70:71]                  // 000000002728: D3B14046 18028D16
	v_pk_mul_f32 v[72:73], v[22:23], v[72:73]                  // 000000002730: D3B14048 18029116
	v_pk_mul_f32 v[74:75], v[22:23], v[74:75]                  // 000000002738: D3B1404A 18029516
	v_pk_mul_f32 v[76:77], v[22:23], v[76:77]                  // 000000002740: D3B1404C 18029916
	v_pk_mul_f32 v[78:79], v[22:23], v[78:79]                  // 000000002748: D3B1404E 18029D16
	v_pk_mul_f32 v[80:81], v[22:23], v[80:81]                  // 000000002750: D3B14050 1802A116
	v_pk_mul_f32 v[82:83], v[22:23], v[82:83]                  // 000000002758: D3B14052 1802A516
	v_pk_mul_f32 v[84:85], v[22:23], v[84:85]                  // 000000002760: D3B14054 1802A916
	v_pk_mul_f32 v[86:87], v[22:23], v[86:87]                  // 000000002768: D3B14056 1802AD16
	v_pk_mul_f32 v[88:89], v[22:23], v[88:89]                  // 000000002770: D3B14058 1802B116
	v_pk_mul_f32 v[90:91], v[22:23], v[90:91]                  // 000000002778: D3B1405A 1802B516
	v_pk_mul_f32 v[92:93], v[22:23], v[92:93]                  // 000000002780: D3B1405C 1802B916
	v_pk_mul_f32 v[94:95], v[22:23], v[94:95]                  // 000000002788: D3B1405E 1802BD16
	v_pk_mul_f32 v[96:97], v[22:23], v[96:97]                  // 000000002790: D3B14060 1802C116
	v_pk_mul_f32 v[98:99], v[22:23], v[98:99]                  // 000000002798: D3B14062 1802C516
	v_pk_mul_f32 v[100:101], v[22:23], v[100:101]              // 0000000027A0: D3B14064 1802C916
	v_pk_mul_f32 v[102:103], v[22:23], v[102:103]              // 0000000027A8: D3B14066 1802CD16
	v_pk_mul_f32 v[104:105], v[22:23], v[104:105]              // 0000000027B0: D3B14068 1802D116
	v_pk_mul_f32 v[106:107], v[22:23], v[106:107]              // 0000000027B8: D3B1406A 1802D516
	v_pk_mul_f32 v[108:109], v[22:23], v[108:109]              // 0000000027C0: D3B1406C 1802D916
	v_pk_mul_f32 v[110:111], v[22:23], v[110:111]              // 0000000027C8: D3B1406E 1802DD16
	v_pk_mul_f32 v[112:113], v[22:23], v[112:113]              // 0000000027D0: D3B14070 1802E116
	v_pk_mul_f32 v[114:115], v[22:23], v[114:115]              // 0000000027D8: D3B14072 1802E516
	v_pk_mul_f32 v[116:117], v[22:23], v[116:117]              // 0000000027E0: D3B14074 1802E916
	v_pk_mul_f32 v[118:119], v[22:23], v[118:119]              // 0000000027E8: D3B14076 1802ED16
	v_pk_mul_f32 v[120:121], v[22:23], v[120:121]              // 0000000027F0: D3B14078 1802F116
	v_pk_mul_f32 v[122:123], v[22:23], v[122:123]              // 0000000027F8: D3B1407A 1802F516
	v_pk_mul_f32 v[124:125], v[22:23], v[124:125]              // 000000002800: D3B1407C 1802F916
	v_pk_mul_f32 v[126:127], v[22:23], v[126:127]              // 000000002808: D3B1407E 1802FD16
	v_pk_mul_f32 v[128:129], v[22:23], v[128:129]              // 000000002810: D3B14080 18030116
	v_pk_mul_f32 v[130:131], v[22:23], v[130:131]              // 000000002818: D3B14082 18030516
	v_pk_mul_f32 v[132:133], v[22:23], v[132:133]              // 000000002820: D3B14084 18030916
	v_pk_mul_f32 v[134:135], v[22:23], v[134:135]              // 000000002828: D3B14086 18030D16
	v_pk_mul_f32 v[136:137], v[22:23], v[136:137]              // 000000002830: D3B14088 18031116
	v_pk_mul_f32 v[138:139], v[22:23], v[138:139]              // 000000002838: D3B1408A 18031516
	v_pk_mul_f32 v[140:141], v[22:23], v[140:141]              // 000000002840: D3B1408C 18031916
	v_pk_mul_f32 v[142:143], v[22:23], v[142:143]              // 000000002848: D3B1408E 18031D16
	v_pk_mul_f32 v[144:145], v[22:23], v[144:145]              // 000000002850: D3B14090 18032116
	v_pk_mul_f32 v[146:147], v[22:23], v[146:147]              // 000000002858: D3B14092 18032516
	v_pk_mul_f32 v[148:149], v[22:23], v[148:149]              // 000000002860: D3B14094 18032916
	v_pk_mul_f32 v[150:151], v[22:23], v[150:151]              // 000000002868: D3B14096 18032D16
	v_pk_mul_f32 v[152:153], v[22:23], v[152:153]              // 000000002870: D3B14098 18033116
	v_pk_mul_f32 v[154:155], v[22:23], v[154:155]              // 000000002878: D3B1409A 18033516
	v_pk_mul_f32 v[156:157], v[22:23], v[156:157]              // 000000002880: D3B1409C 18033916
	v_pk_mul_f32 v[158:159], v[22:23], v[158:159]              // 000000002888: D3B1409E 18033D16
	v_pk_mul_f32 v[160:161], v[22:23], v[160:161]              // 000000002890: D3B140A0 18034116
	v_pk_mul_f32 v[162:163], v[22:23], v[162:163]              // 000000002898: D3B140A2 18034516
	v_pk_mul_f32 v[164:165], v[22:23], v[164:165]              // 0000000028A0: D3B140A4 18034916
	v_pk_mul_f32 v[166:167], v[22:23], v[166:167]              // 0000000028A8: D3B140A6 18034D16
	s_waitcnt lgkmcnt(0)                                       // 0000000028B0: BF8CC07F
	v_mfma_f32_16x16x16_bf16 v[40:43], a[144:145], v[32:33], v[40:43]// 0000000028B4: D3E10028 0CA24190
	ds_read_b128 a[176:179], v7 offset:45312                   // 0000000028BC: DBFEB100 B0000007
	ds_read_b128 a[180:183], v7 offset:46336                   // 0000000028C4: DBFEB500 B4000007
	v_mfma_f32_16x16x16_bf16 v[44:47], a[146:147], v[32:33], v[44:47]// 0000000028CC: D3E1002C 0CB24192
	v_mfma_f32_16x16x16_bf16 v[48:51], a[148:149], v[32:33], v[48:51]// 0000000028D4: D3E10030 0CC24194
	v_mfma_f32_16x16x16_bf16 v[52:55], a[150:151], v[32:33], v[52:55]// 0000000028DC: D3E10034 0CD24196
	v_mfma_f32_16x16x16_bf16 v[56:59], a[152:153], v[32:33], v[56:59]// 0000000028E4: D3E10038 0CE24198
	ds_read_b128 a[184:187], v7 offset:47360                   // 0000000028EC: DBFEB900 B8000007
	ds_read_b128 a[188:191], v7 offset:48384                   // 0000000028F4: DBFEBD00 BC000007
	v_mfma_f32_16x16x16_bf16 v[60:63], a[154:155], v[32:33], v[60:63]// 0000000028FC: D3E1003C 0CF2419A
	v_mfma_f32_16x16x16_bf16 v[64:67], a[156:157], v[32:33], v[64:67]// 000000002904: D3E10040 0D02419C
	v_mfma_f32_16x16x16_bf16 v[68:71], a[158:159], v[32:33], v[68:71]// 00000000290C: D3E10044 0D12419E
	v_mfma_f32_16x16x16_bf16 v[72:75], a[160:161], v[32:33], v[72:75]// 000000002914: D3E10048 0D2241A0
	ds_read_b128 a[192:195], v7 offset:49408                   // 00000000291C: DBFEC100 C0000007
	ds_read_b128 a[196:199], v7 offset:50432                   // 000000002924: DBFEC500 C4000007
	v_mfma_f32_16x16x16_bf16 v[76:79], a[162:163], v[32:33], v[76:79]// 00000000292C: D3E1004C 0D3241A2
	v_mfma_f32_16x16x16_bf16 v[80:83], a[164:165], v[32:33], v[80:83]// 000000002934: D3E10050 0D4241A4
	v_mfma_f32_16x16x16_bf16 v[84:87], a[166:167], v[32:33], v[84:87]// 00000000293C: D3E10054 0D5241A6
	v_mfma_f32_16x16x16_bf16 v[88:91], a[168:169], v[32:33], v[88:91]// 000000002944: D3E10058 0D6241A8
	ds_read_b128 a[200:203], v7 offset:51456                   // 00000000294C: DBFEC900 C8000007
	ds_read_b128 a[204:207], v7 offset:52480                   // 000000002954: DBFECD00 CC000007
	v_mfma_f32_16x16x16_bf16 v[92:95], a[170:171], v[32:33], v[92:95]// 00000000295C: D3E1005C 0D7241AA
	v_mfma_f32_16x16x16_bf16 v[96:99], a[172:173], v[32:33], v[96:99]// 000000002964: D3E10060 0D8241AC
	v_mfma_f32_16x16x16_bf16 v[100:103], a[174:175], v[32:33], v[100:103]// 00000000296C: D3E10064 0D9241AE
	s_waitcnt lgkmcnt(4)                                       // 000000002974: BF8CC47F
	v_mfma_f32_16x16x16_bf16 v[104:107], a[176:177], v[32:33], v[104:107]// 000000002978: D3E10068 0DA241B0
	v_mfma_f32_16x16x16_bf16 v[108:111], a[178:179], v[32:33], v[108:111]// 000000002980: D3E1006C 0DB241B2
	v_mfma_f32_16x16x16_bf16 v[112:115], a[180:181], v[32:33], v[112:115]// 000000002988: D3E10070 0DC241B4
	s_waitcnt vmcnt(18) lgkmcnt(0)                             // 000000002990: BF8C4072
	s_barrier                                                  // 000000002994: BF8A0000
	v_mfma_f32_16x16x16_bf16 v[116:119], a[182:183], v[32:33], v[116:119]// 000000002998: D3E10074 0DD241B6
	ds_read_b64 v[20:21], v5 offset:18560                      // 0000000029A0: D8EC4880 14000005
	ds_read_b64 v[22:23], v5 offset:23200                      // 0000000029A8: D8EC5AA0 16000005
	v_mfma_f32_16x16x16_bf16 v[120:123], a[184:185], v[32:33], v[120:123]// 0000000029B0: D3E10078 0DE241B8
	ds_read_b64 v[24:25], v5 offset:27840                      // 0000000029B8: D8EC6CC0 18000005
	ds_read_b64 v[26:27], v5 offset:32480                      // 0000000029C0: D8EC7EE0 1A000005
	v_mfma_f32_16x16x16_bf16 v[124:127], a[186:187], v[32:33], v[124:127]// 0000000029C8: D3E1007C 0DF241BA
	ds_read_b128 a[144:147], v4 offset:18560                   // 0000000029D0: DBFE4880 90000004
	v_mfma_f32_16x16x16_bf16 v[128:131], a[188:189], v[32:33], v[128:131]// 0000000029D8: D3E10080 0E0241BC
	ds_read_b128 a[148:151], v4 offset:18624                   // 0000000029E0: DBFE48C0 94000004
	v_mfma_f32_16x16x16_bf16 v[132:135], a[190:191], v[32:33], v[132:135]// 0000000029E8: D3E10084 0E1241BE
	ds_read_b128 a[152:155], v4 offset:18816                   // 0000000029F0: DBFE4980 98000004
	v_mfma_f32_16x16x16_bf16 v[136:139], a[192:193], v[32:33], v[136:139]// 0000000029F8: D3E10088 0E2241C0
	ds_read_b128 a[156:159], v4 offset:18880                   // 000000002A00: DBFE49C0 9C000004
	v_mfma_f32_16x16x16_bf16 v[140:143], a[194:195], v[32:33], v[140:143]// 000000002A08: D3E1008C 0E3241C2
	ds_read_b128 a[160:163], v4 offset:19072                   // 000000002A10: DBFE4A80 A0000004
	v_mfma_f32_16x16x16_bf16 v[144:147], a[196:197], v[32:33], v[144:147]// 000000002A18: D3E10090 0E4241C4
	ds_read_b128 a[164:167], v4 offset:19136                   // 000000002A20: DBFE4AC0 A4000004
	v_mfma_f32_16x16x16_bf16 v[148:151], a[198:199], v[32:33], v[148:151]// 000000002A28: D3E10094 0E5241C6
	ds_read_b128 a[168:171], v4 offset:19328                   // 000000002A30: DBFE4B80 A8000004
	v_mfma_f32_16x16x16_bf16 v[152:155], a[200:201], v[32:33], v[152:155]// 000000002A38: D3E10098 0E6241C8
	ds_read_b128 a[172:175], v4 offset:19392                   // 000000002A40: DBFE4BC0 AC000004
	v_mfma_f32_16x16x16_bf16 v[156:159], a[202:203], v[32:33], v[156:159]// 000000002A48: D3E1009C 0E7241CA
	s_waitcnt lgkmcnt(8)                                       // 000000002A50: BF8CC87F
	v_perm_b32 v168, v22, v20, s53                             // 000000002A54: D1ED00A8 00D62916
	v_perm_b32 v170, v22, v20, s52                             // 000000002A5C: D1ED00AA 00D22916
	v_perm_b32 v169, v26, v24, s53                             // 000000002A64: D1ED00A9 00D6311A
	v_perm_b32 v171, v26, v24, s52                             // 000000002A6C: D1ED00AB 00D2311A
	v_mfma_f32_16x16x16_bf16 v[160:163], a[204:205], v[32:33], v[160:163]// 000000002A74: D3E100A0 0E8241CC
	ds_write_b128 v6, v[168:171] offset:37120                  // 000000002A7C: D9BE9100 0000A806
	v_perm_b32 v168, v23, v21, s53                             // 000000002A84: D1ED00A8 00D62B17
	v_perm_b32 v170, v23, v21, s52                             // 000000002A8C: D1ED00AA 00D22B17
	v_perm_b32 v169, v27, v25, s53                             // 000000002A94: D1ED00A9 00D6331B
	v_perm_b32 v171, v27, v25, s52                             // 000000002A9C: D1ED00AB 00D2331B
	v_mfma_f32_16x16x16_bf16 v[164:167], a[206:207], v[32:33], v[164:167]// 000000002AA4: D3E100A4 0E9241CE
	ds_write_b128 v6, v[168:171] offset:38144                  // 000000002AAC: D9BE9500 0000A806
	ds_read_b64 v[20:21], v5 offset:19584                      // 000000002AB4: D8EC4C80 14000005
	ds_read_b64 v[22:23], v5 offset:24224                      // 000000002ABC: D8EC5EA0 16000005
	ds_read_b64 v[24:25], v5 offset:28864                      // 000000002AC4: D8EC70C0 18000005
	ds_read_b64 v[26:27], v5 offset:33504                      // 000000002ACC: D8EC82E0 1A000005
	s_nop 0                                                    // 000000002AD4: BF800000
	s_addk_i32 s70, 0x1                                        // 000000002AD8: B7460001
	s_cmp_lt_i32 s70, s71                                      // 000000002ADC: BF044746
	s_cbranch_scc0 label_091E                                  // 000000002AE0: BF840265
	s_waitcnt lgkmcnt(4)                                       // 000000002AE4: BF8CC47F
	v_mfma_f32_16x16x16_bf16 v[32:35], a[144:145], a[0:1], 0   // 000000002AE8: D3E10020 1A020190
	ds_read_b128 a[176:179], v4 offset:19584                   // 000000002AF0: DBFE4C80 B0000004
	ds_read_b128 a[180:183], v4 offset:19648                   // 000000002AF8: DBFE4CC0 B4000004
	v_mfma_f32_16x16x16_bf16 v[32:35], a[146:147], a[2:3], v[32:35]// 000000002B00: D3E10020 1C820592
	buffer_load_dword v11, v8, s[24:27], 0 offen               // 000000002B08: E0501000 80060B08
	v_mfma_f32_16x16x16_bf16 v[32:35], a[148:149], a[4:5], v[32:35]// 000000002B10: D3E10020 1C820994
	v_mfma_f32_16x16x16_bf16 v[32:35], a[150:151], a[6:7], v[32:35]// 000000002B18: D3E10020 1C820D96
	v_mfma_f32_16x16x16_bf16 v[32:35], a[152:153], a[8:9], v[32:35]// 000000002B20: D3E10020 1C821198
	ds_read_b128 a[184:187], v4 offset:19840                   // 000000002B28: DBFE4D80 B8000004
	ds_read_b128 a[188:191], v4 offset:19904                   // 000000002B30: DBFE4DC0 BC000004
	v_mfma_f32_16x16x16_bf16 v[32:35], a[154:155], a[10:11], v[32:35]// 000000002B38: D3E10020 1C82159A
	v_mfma_f32_16x16x16_bf16 v[32:35], a[156:157], a[12:13], v[32:35]// 000000002B40: D3E10020 1C82199C
	v_mfma_f32_16x16x16_bf16 v[32:35], a[158:159], a[14:15], v[32:35]// 000000002B48: D3E10020 1C821D9E
	s_waitcnt lgkmcnt(4)                                       // 000000002B50: BF8CC47F
	v_mfma_f32_16x16x16_bf16 v[32:35], a[160:161], a[16:17], v[32:35]// 000000002B54: D3E10020 1C8221A0
	ds_read_b128 a[192:195], v4 offset:20096                   // 000000002B5C: DBFE4E80 C0000004
	ds_read_b128 a[196:199], v4 offset:20160                   // 000000002B64: DBFE4EC0 C4000004
	v_mfma_f32_16x16x16_bf16 v[32:35], a[162:163], a[18:19], v[32:35]// 000000002B6C: D3E10020 1C8225A2
	v_mfma_f32_16x16x16_bf16 v[32:35], a[164:165], a[20:21], v[32:35]// 000000002B74: D3E10020 1C8229A4
	v_mfma_f32_16x16x16_bf16 v[32:35], a[166:167], a[22:23], v[32:35]// 000000002B7C: D3E10020 1C822DA6
	v_mfma_f32_16x16x16_bf16 v[32:35], a[168:169], a[24:25], v[32:35]// 000000002B84: D3E10020 1C8231A8
	ds_read_b128 a[200:203], v4 offset:20352                   // 000000002B8C: DBFE4F80 C8000004
	ds_read_b128 a[204:207], v4 offset:20416                   // 000000002B94: DBFE4FC0 CC000004
	v_mfma_f32_16x16x16_bf16 v[32:35], a[170:171], a[26:27], v[32:35]// 000000002B9C: D3E10020 1C8235AA
	v_mfma_f32_16x16x16_bf16 v[32:35], a[172:173], a[28:29], v[32:35]// 000000002BA4: D3E10020 1C8239AC
	v_mfma_f32_16x16x16_bf16 v[32:35], a[174:175], a[30:31], v[32:35]// 000000002BAC: D3E10020 1C823DAE
	s_waitcnt lgkmcnt(4)                                       // 000000002BB4: BF8CC47F
	s_barrier                                                  // 000000002BB8: BF8A0000
	v_mfma_f32_16x16x16_bf16 v[32:35], a[176:177], a[32:33], v[32:35]// 000000002BBC: D3E10020 1C8241B0
	ds_read_b128 a[208:211], v4 offset:20608                   // 000000002BC4: DBFE5080 D0000004
	ds_read_b128 a[212:215], v4 offset:20672                   // 000000002BCC: DBFE50C0 D4000004
	v_mfma_f32_16x16x16_bf16 v[32:35], a[178:179], a[34:35], v[32:35]// 000000002BD4: D3E10020 1C8245B2
	v_mfma_f32_16x16x16_bf16 v[32:35], a[180:181], a[36:37], v[32:35]// 000000002BDC: D3E10020 1C8249B4
	v_perm_b32 v168, v22, v20, s53                             // 000000002BE4: D1ED00A8 00D62916
	v_perm_b32 v170, v22, v20, s52                             // 000000002BEC: D1ED00AA 00D22916
	v_perm_b32 v169, v26, v24, s53                             // 000000002BF4: D1ED00A9 00D6311A
	v_perm_b32 v171, v26, v24, s52                             // 000000002BFC: D1ED00AB 00D2311A
	v_mfma_f32_16x16x16_bf16 v[32:35], a[182:183], a[38:39], v[32:35]// 000000002C04: D3E10020 1C824DB6
	buffer_load_dword v18, s[20:23], 0 offen lds               // 000000002C0C: E0511000 80050012
	s_add_u32 m0, 0, s37                                       // 000000002C14: 807C2580
	v_mfma_f32_16x16x16_bf16 v[32:35], a[184:185], a[40:41], v[32:35]// 000000002C18: D3E10020 1C8251B8
	ds_write_b128 v6, v[168:171] offset:45312                  // 000000002C20: D9BEB100 0000A806
	v_mfma_f32_16x16x16_bf16 v[32:35], a[186:187], a[42:43], v[32:35]// 000000002C28: D3E10020 1C8255BA
	buffer_load_dword v19, s[20:23], 0 offen lds               // 000000002C30: E0511000 80050013
	s_add_u32 m0, 0x80, s36                                    // 000000002C38: 807C24FF 00000080
	v_mfma_f32_16x16x16_bf16 v[32:35], a[188:189], a[44:45], v[32:35]// 000000002C40: D3E10020 1C8259BC
	v_perm_b32 v168, v23, v21, s53                             // 000000002C48: D1ED00A8 00D62B17
	v_perm_b32 v170, v23, v21, s52                             // 000000002C50: D1ED00AA 00D22B17
	v_perm_b32 v169, v27, v25, s53                             // 000000002C58: D1ED00A9 00D6331B
	v_perm_b32 v171, v27, v25, s52                             // 000000002C60: D1ED00AB 00D2331B
	v_mfma_f32_16x16x16_bf16 v[32:35], a[190:191], a[46:47], v[32:35]// 000000002C68: D3E10020 1C825DBE
	buffer_load_dword v18, s[20:23], 0 offen offset:128 lds    // 000000002C70: E0511080 80050012
	s_add_u32 m0, 0x80, s37                                    // 000000002C78: 807C25FF 00000080
	s_waitcnt lgkmcnt(1)                                       // 000000002C80: BF8CC17F
	v_mfma_f32_16x16x16_bf16 v[32:35], a[192:193], a[48:49], v[32:35]// 000000002C84: D3E10020 1C8261C0
	ds_write_b128 v6, v[168:171] offset:46336                  // 000000002C8C: D9BEB500 0000A806
	v_mfma_f32_16x16x16_bf16 v[32:35], a[194:195], a[50:51], v[32:35]// 000000002C94: D3E10020 1C8265C2
	buffer_load_dword v19, s[20:23], 0 offen offset:128 lds    // 000000002C9C: E0511080 80050013
	s_add_u32 m0, 0x100, s36                                   // 000000002CA4: 807C24FF 00000100
	v_mfma_f32_16x16x16_bf16 v[32:35], a[196:197], a[52:53], v[32:35]// 000000002CAC: D3E10020 1C8269C4
	v_mfma_f32_16x16x16_bf16 v[32:35], a[198:199], a[54:55], v[32:35]// 000000002CB4: D3E10020 1C826DC6
	buffer_load_dword v18, s[20:23], 0 offen offset:256 lds    // 000000002CBC: E0511100 80050012
	s_add_u32 m0, 0x100, s37                                   // 000000002CC4: 807C25FF 00000100
	v_mfma_f32_16x16x16_bf16 v[32:35], a[200:201], a[56:57], v[32:35]// 000000002CCC: D3E10020 1C8271C8
	v_mfma_f32_16x16x16_bf16 v[32:35], a[202:203], a[58:59], v[32:35]// 000000002CD4: D3E10020 1C8275CA
	buffer_load_dword v19, s[20:23], 0 offen offset:256 lds    // 000000002CDC: E0511100 80050013
	s_add_u32 m0, 0x180, s36                                   // 000000002CE4: 807C24FF 00000180
	v_mfma_f32_16x16x16_bf16 v[32:35], a[204:205], a[60:61], v[32:35]// 000000002CEC: D3E10020 1C8279CC
	v_mfma_f32_16x16x16_bf16 v[32:35], a[206:207], a[62:63], v[32:35]// 000000002CF4: D3E10020 1C827DCE
	buffer_load_dword v18, s[20:23], 0 offen offset:384 lds    // 000000002CFC: E0511180 80050012
	s_add_u32 m0, 0x180, s37                                   // 000000002D04: 807C25FF 00000180
	v_mfma_f32_16x16x16_bf16 v[32:35], a[208:209], a[64:65], v[32:35]// 000000002D0C: D3E10020 1C8281D0
	v_mfma_f32_16x16x16_bf16 v[32:35], a[210:211], a[66:67], v[32:35]// 000000002D14: D3E10020 1C8285D2
	buffer_load_dword v19, s[20:23], 0 offen offset:384 lds    // 000000002D1C: E0511180 80050013
	s_add_u32 m0, 0x200, s36                                   // 000000002D24: 807C24FF 00000200
	v_mfma_f32_16x16x16_bf16 v[32:35], a[212:213], a[68:69], v[32:35]// 000000002D2C: D3E10020 1C8289D4
	v_mfma_f32_16x16x16_bf16 v[32:35], a[214:215], a[70:71], v[32:35]// 000000002D34: D3E10020 1C828DD6
	buffer_load_dword v18, s[20:23], 0 offen offset:512 lds    // 000000002D3C: E0511200 80050012
	s_add_u32 m0, 0x200, s37                                   // 000000002D44: 807C25FF 00000200
	v_add_u32_e32 v8, s73, v8                                  // 000000002D4C: 68101049
	s_cmp_le_i32 s83, s82                                      // 000000002D50: BF055253
	s_cbranch_scc1 label_077A                                  // 000000002D54: BF850024
	v_mov_b32_e32 v25, 0xff800000                              // 000000002D58: 7E3202FF FF800000
	s_add_u32 s57, s82, 0                                      // 000000002D60: 80398052
	v_mov_b32_e32 v24, s57                                     // 000000002D64: 7E300239
	v_add_u32_e32 v24, s7, v24                                 // 000000002D68: 68303007
	s_sub_u32 s56, s83, 15                                     // 000000002D6C: 80B88F53
	v_lshrrev_b32_e32 v20, 4, v0                               // 000000002D70: 20280084
	v_mul_i32_i24_e32 v20, 4, v20                              // 000000002D74: 0C282884
	v_add_u32_e32 v20, s56, v20                                // 000000002D78: 68282838
	v_add_u32_e32 v21, 1, v20                                  // 000000002D7C: 682A2881
	v_add_u32_e32 v22, 2, v20                                  // 000000002D80: 682C2882
	v_add_u32_e32 v23, 3, v20                                  // 000000002D84: 682E2883
	v_cmp_le_u32_e64 s[38:39], v20, v24                        // 000000002D88: D0CB0026 00023114
	v_add_u32_e32 v20, 64, v20                                 // 000000002D90: 682828C0
	s_nop 0                                                    // 000000002D94: BF800000
	v_cndmask_b32_e64 v32, v25, v32, s[38:39]                  // 000000002D98: D1000020 009A4119
	v_cmp_le_u32_e64 s[38:39], v21, v24                        // 000000002DA0: D0CB0026 00023115
	v_add_u32_e32 v21, 64, v21                                 // 000000002DA8: 682A2AC0
	s_nop 0                                                    // 000000002DAC: BF800000
	v_cndmask_b32_e64 v33, v25, v33, s[38:39]                  // 000000002DB0: D1000021 009A4319
	v_cmp_le_u32_e64 s[38:39], v22, v24                        // 000000002DB8: D0CB0026 00023116
	v_add_u32_e32 v22, 64, v22                                 // 000000002DC0: 682C2CC0
	s_nop 0                                                    // 000000002DC4: BF800000
	v_cndmask_b32_e64 v34, v25, v34, s[38:39]                  // 000000002DC8: D1000022 009A4519
	v_cmp_le_u32_e64 s[38:39], v23, v24                        // 000000002DD0: D0CB0026 00023117
	v_add_u32_e32 v23, 64, v23                                 // 000000002DD8: 682E2EC0
	s_nop 0                                                    // 000000002DDC: BF800000
	v_cndmask_b32_e64 v35, v25, v35, s[38:39]                  // 000000002DE0: D1000023 009A4719

0000000000002de8 <label_077A>:
	s_waitcnt lgkmcnt(0)                                       // 000000002DE8: BF8CC07F
	s_barrier                                                  // 000000002DEC: BF8A0000
	v_max3_f32 v24, v32, v33, v32                              // 000000002DF0: D1D30018 04824320
	v_max3_f32 v24, v34, v35, v24                              // 000000002DF8: D1D30018 04624722
	ds_write_b32 v3, v24 offset:53504                          // 000000002E00: D81AD100 00001803
	buffer_load_dword v19, s[20:23], 0 offen offset:512 lds    // 000000002E08: E0511200 80050013
	s_add_u32 m0, 0x280, s36                                   // 000000002E10: 807C24FF 00000280
	buffer_load_dword v18, s[20:23], 0 offen offset:640 lds    // 000000002E18: E0511280 80050012
	s_add_u32 m0, 0x280, s37                                   // 000000002E20: 807C25FF 00000280
	s_waitcnt lgkmcnt(0)                                       // 000000002E28: BF8CC07F
	ds_read_b32 v20, v2 offset:53504                           // 000000002E2C: D86CD100 14000002
	ds_read_b32 v21, v2 offset:53568                           // 000000002E34: D86CD140 15000002
	ds_read_b32 v22, v2 offset:53632                           // 000000002E3C: D86CD180 16000002
	ds_read_b32 v23, v2 offset:53696                           // 000000002E44: D86CD1C0 17000002
	buffer_load_dword v19, s[20:23], 0 offen offset:640 lds    // 000000002E4C: E0511280 80050013
	s_add_u32 m0, 0x300, s36                                   // 000000002E54: 807C24FF 00000300
	buffer_load_dword v18, s[20:23], 0 offen offset:768 lds    // 000000002E5C: E0511300 80050012
	s_add_u32 m0, 0x300, s37                                   // 000000002E64: 807C25FF 00000300
	buffer_load_dword v19, s[20:23], 0 offen offset:768 lds    // 000000002E6C: E0511300 80050013
	s_add_u32 m0, 0x380, s36                                   // 000000002E74: 807C24FF 00000380
	s_waitcnt lgkmcnt(0)                                       // 000000002E7C: BF8CC07F
	v_max3_f32 v24, v20, v21, v24                              // 000000002E80: D1D30018 04622B14
	v_max3_f32 v24, v22, v23, v24                              // 000000002E88: D1D30018 04622F16
	buffer_load_dword v18, s[20:23], 0 offen offset:896 lds    // 000000002E90: E0511380 80050012
	s_add_u32 m0, 0x380, s37                                   // 000000002E98: 807C25FF 00000380
	buffer_load_dword v19, s[20:23], 0 offen offset:896 lds    // 000000002EA0: E0511380 80050013
	s_add_u32 m0, 0x400, s36                                   // 000000002EA8: 807C24FF 00000400
	ds_read_b128 a[144:147], v7 offset:37120                   // 000000002EB0: DBFE9100 90000007
	ds_read_b128 a[148:151], v7 offset:38144                   // 000000002EB8: DBFE9500 94000007
	buffer_load_dword v18, s[20:23], 0 offen offset:1024 lds   // 000000002EC0: E0511400 80050012
	s_add_u32 m0, 0x400, s37                                   // 000000002EC8: 807C25FF 00000400
	ds_read_b128 a[152:155], v7 offset:39168                   // 000000002ED0: DBFE9900 98000007
	ds_read_b128 a[156:159], v7 offset:40192                   // 000000002ED8: DBFE9D00 9C000007
	buffer_load_dword v19, s[20:23], 0 offen offset:1024 lds   // 000000002EE0: E0511400 80050013
	s_add_u32 m0, 0x480, s36                                   // 000000002EE8: 807C24FF 00000480
	ds_read_b128 a[160:163], v7 offset:41216                   // 000000002EF0: DBFEA100 A0000007
	ds_read_b128 a[164:167], v7 offset:42240                   // 000000002EF8: DBFEA500 A4000007
	ds_read_b128 a[168:171], v7 offset:43264                   // 000000002F00: DBFEA900 A8000007
	ds_read_b128 a[172:175], v7 offset:44288                   // 000000002F08: DBFEAD00 AC000007
	v_mov_b32_e32 v25, 0xff7fffff                              // 000000002F10: 7E3202FF FF7FFFFF
	v_cmp_eq_u32_e64 s[38:39], v25, v12                        // 000000002F18: D0CA0026 00021919
	v_max_f32_e32 v20, v24, v12                                // 000000002F20: 16281918
	v_sub_f32_e32 v16, v12, v20                                // 000000002F24: 0420290C
	v_cndmask_b32_e64 v16, v16, 0, s[38:39]                    // 000000002F28: D1000010 00990110
	v_mov_b32_e32 v12, v20                                     // 000000002F30: 7E180314
	v_mul_f32_e32 v21, s5, v20                                 // 000000002F34: 0A2A2805
	v_mul_f32_e32 v16, s5, v16                                 // 000000002F38: 0A202005
	v_exp_f32_e32 v16, v16                                     // 000000002F3C: 7E204110
	v_fma_f32 v32, v32, s5, -v21                               // 000000002F40: D1CB0020 84540B20
	v_fma_f32 v33, v33, s5, -v21                               // 000000002F48: D1CB0021 84540B21
	v_fma_f32 v34, v34, s5, -v21                               // 000000002F50: D1CB0022 84540B22
	v_fma_f32 v35, v35, s5, -v21                               // 000000002F58: D1CB0023 84540B23
	v_exp_f32_e32 v32, v32                                     // 000000002F60: 7E404120
	v_exp_f32_e32 v33, v33                                     // 000000002F64: 7E424121
	v_exp_f32_e32 v34, v34                                     // 000000002F68: 7E444122
	v_exp_f32_e32 v35, v35                                     // 000000002F6C: 7E464123
	v_mul_f32_e32 v14, v16, v14                                // 000000002F70: 0A1C1D10
	v_mov_b32_e32 v22, v32                                     // 000000002F74: 7E2C0320
	v_add_f32_e32 v22, v33, v22                                // 000000002F78: 022C2D21
	v_add_f32_e32 v22, v34, v22                                // 000000002F7C: 022C2D22
	v_add_f32_e32 v22, v35, v22                                // 000000002F80: 022C2D23
	v_add_f32_e32 v14, v22, v14                                // 000000002F84: 021C1D16
	v_mov_b32_e32 v29, 0xffff0000                              // 000000002F88: 7E3A02FF FFFF0000
	v_mov_b32_e32 v30, 0x7fff0000                              // 000000002F90: 7E3C02FF 7FFF0000
	v_mov_b32_e32 v31, 0x7fff                                  // 000000002F98: 7E3E02FF 00007FFF
	v_cmp_u_f32_e64 s[38:39], v32, v32                         // 000000002FA0: D0480026 00024120
	v_add3_u32 v28, v32, v31, 1                                // 000000002FA8: D1FF001C 02063F20
	v_cndmask_b32_e64 v20, v28, v30, s[38:39]                  // 000000002FB0: D1000014 009A3D1C
	v_cmp_u_f32_e64 s[38:39], v33, v33                         // 000000002FB8: D0480026 00024321
	v_add3_u32 v28, v33, v31, 1                                // 000000002FC0: D1FF001C 02063F21
	v_cndmask_b32_e64 v21, v28, v30, s[38:39]                  // 000000002FC8: D1000015 009A3D1C
	v_perm_b32 v32, v21, v20, s52                              // 000000002FD0: D1ED0020 00D22915
	v_cmp_u_f32_e64 s[38:39], v34, v34                         // 000000002FD8: D0480026 00024522
	v_add3_u32 v28, v34, v31, 1                                // 000000002FE0: D1FF001C 02063F22
	v_cndmask_b32_e64 v20, v28, v30, s[38:39]                  // 000000002FE8: D1000014 009A3D1C
	v_cmp_u_f32_e64 s[38:39], v35, v35                         // 000000002FF0: D0480026 00024723
	v_add3_u32 v28, v35, v31, 1                                // 000000002FF8: D1FF001C 02063F23
	v_cndmask_b32_e64 v21, v28, v30, s[38:39]                  // 000000003000: D1000015 009A3D1C
	v_perm_b32 v33, v21, v20, s52                              // 000000003008: D1ED0021 00D22915
	s_nop 2                                                    // 000000003010: BF800002
	s_add_u32 s83, s84, s83                                    // 000000003014: 80535354
	s_nop 0                                                    // 000000003018: BF800000
	v_mul_u32_u24_dpp v18, v10, v9 row_newbcast:0 row_mask:0xf bank_mask:0xf// 00000000301C: 102412FA FF01500A
	v_mul_u32_u24_dpp v19, v10, v9 row_newbcast:8 row_mask:0xf bank_mask:0xf// 000000003024: 102612FA FF01580A
	v_add_u32_e32 v18, v18, v1                                 // 00000000302C: 68240312
	v_add_u32_e32 v19, v19, v1                                 // 000000003030: 68260313
	s_mov_b32 m0, s34                                          // 000000003034: BEFC0022
	v_mov_b32_e32 v22, v16                                     // 000000003038: 7E2C0310
	v_mov_b32_e32 v23, v16                                     // 00000000303C: 7E2E0310
	v_pk_mul_f32 v[40:41], v[22:23], v[40:41]                  // 000000003040: D3B14028 18025116
	v_pk_mul_f32 v[42:43], v[22:23], v[42:43]                  // 000000003048: D3B1402A 18025516
	v_pk_mul_f32 v[44:45], v[22:23], v[44:45]                  // 000000003050: D3B1402C 18025916
	v_pk_mul_f32 v[46:47], v[22:23], v[46:47]                  // 000000003058: D3B1402E 18025D16
	v_pk_mul_f32 v[48:49], v[22:23], v[48:49]                  // 000000003060: D3B14030 18026116
	v_pk_mul_f32 v[50:51], v[22:23], v[50:51]                  // 000000003068: D3B14032 18026516
	v_pk_mul_f32 v[52:53], v[22:23], v[52:53]                  // 000000003070: D3B14034 18026916
	v_pk_mul_f32 v[54:55], v[22:23], v[54:55]                  // 000000003078: D3B14036 18026D16
	v_pk_mul_f32 v[56:57], v[22:23], v[56:57]                  // 000000003080: D3B14038 18027116
	v_pk_mul_f32 v[58:59], v[22:23], v[58:59]                  // 000000003088: D3B1403A 18027516
	v_pk_mul_f32 v[60:61], v[22:23], v[60:61]                  // 000000003090: D3B1403C 18027916
	v_pk_mul_f32 v[62:63], v[22:23], v[62:63]                  // 000000003098: D3B1403E 18027D16
	v_pk_mul_f32 v[64:65], v[22:23], v[64:65]                  // 0000000030A0: D3B14040 18028116
	v_pk_mul_f32 v[66:67], v[22:23], v[66:67]                  // 0000000030A8: D3B14042 18028516
	v_pk_mul_f32 v[68:69], v[22:23], v[68:69]                  // 0000000030B0: D3B14044 18028916
	v_pk_mul_f32 v[70:71], v[22:23], v[70:71]                  // 0000000030B8: D3B14046 18028D16
	v_pk_mul_f32 v[72:73], v[22:23], v[72:73]                  // 0000000030C0: D3B14048 18029116
	v_pk_mul_f32 v[74:75], v[22:23], v[74:75]                  // 0000000030C8: D3B1404A 18029516
	v_pk_mul_f32 v[76:77], v[22:23], v[76:77]                  // 0000000030D0: D3B1404C 18029916
	v_pk_mul_f32 v[78:79], v[22:23], v[78:79]                  // 0000000030D8: D3B1404E 18029D16
	v_pk_mul_f32 v[80:81], v[22:23], v[80:81]                  // 0000000030E0: D3B14050 1802A116
	v_pk_mul_f32 v[82:83], v[22:23], v[82:83]                  // 0000000030E8: D3B14052 1802A516
	v_pk_mul_f32 v[84:85], v[22:23], v[84:85]                  // 0000000030F0: D3B14054 1802A916
	v_pk_mul_f32 v[86:87], v[22:23], v[86:87]                  // 0000000030F8: D3B14056 1802AD16
	v_pk_mul_f32 v[88:89], v[22:23], v[88:89]                  // 000000003100: D3B14058 1802B116
	v_pk_mul_f32 v[90:91], v[22:23], v[90:91]                  // 000000003108: D3B1405A 1802B516
	v_pk_mul_f32 v[92:93], v[22:23], v[92:93]                  // 000000003110: D3B1405C 1802B916
	v_pk_mul_f32 v[94:95], v[22:23], v[94:95]                  // 000000003118: D3B1405E 1802BD16
	v_pk_mul_f32 v[96:97], v[22:23], v[96:97]                  // 000000003120: D3B14060 1802C116
	v_pk_mul_f32 v[98:99], v[22:23], v[98:99]                  // 000000003128: D3B14062 1802C516
	v_pk_mul_f32 v[100:101], v[22:23], v[100:101]              // 000000003130: D3B14064 1802C916
	v_pk_mul_f32 v[102:103], v[22:23], v[102:103]              // 000000003138: D3B14066 1802CD16
	v_pk_mul_f32 v[104:105], v[22:23], v[104:105]              // 000000003140: D3B14068 1802D116
	v_pk_mul_f32 v[106:107], v[22:23], v[106:107]              // 000000003148: D3B1406A 1802D516
	v_pk_mul_f32 v[108:109], v[22:23], v[108:109]              // 000000003150: D3B1406C 1802D916
	v_pk_mul_f32 v[110:111], v[22:23], v[110:111]              // 000000003158: D3B1406E 1802DD16
	v_pk_mul_f32 v[112:113], v[22:23], v[112:113]              // 000000003160: D3B14070 1802E116
	v_pk_mul_f32 v[114:115], v[22:23], v[114:115]              // 000000003168: D3B14072 1802E516
	v_pk_mul_f32 v[116:117], v[22:23], v[116:117]              // 000000003170: D3B14074 1802E916
	v_pk_mul_f32 v[118:119], v[22:23], v[118:119]              // 000000003178: D3B14076 1802ED16
	v_pk_mul_f32 v[120:121], v[22:23], v[120:121]              // 000000003180: D3B14078 1802F116
	v_pk_mul_f32 v[122:123], v[22:23], v[122:123]              // 000000003188: D3B1407A 1802F516
	v_pk_mul_f32 v[124:125], v[22:23], v[124:125]              // 000000003190: D3B1407C 1802F916
	v_pk_mul_f32 v[126:127], v[22:23], v[126:127]              // 000000003198: D3B1407E 1802FD16
	v_pk_mul_f32 v[128:129], v[22:23], v[128:129]              // 0000000031A0: D3B14080 18030116
	v_pk_mul_f32 v[130:131], v[22:23], v[130:131]              // 0000000031A8: D3B14082 18030516
	v_pk_mul_f32 v[132:133], v[22:23], v[132:133]              // 0000000031B0: D3B14084 18030916
	v_pk_mul_f32 v[134:135], v[22:23], v[134:135]              // 0000000031B8: D3B14086 18030D16
	v_pk_mul_f32 v[136:137], v[22:23], v[136:137]              // 0000000031C0: D3B14088 18031116
	v_pk_mul_f32 v[138:139], v[22:23], v[138:139]              // 0000000031C8: D3B1408A 18031516
	v_pk_mul_f32 v[140:141], v[22:23], v[140:141]              // 0000000031D0: D3B1408C 18031916
	v_pk_mul_f32 v[142:143], v[22:23], v[142:143]              // 0000000031D8: D3B1408E 18031D16
	v_pk_mul_f32 v[144:145], v[22:23], v[144:145]              // 0000000031E0: D3B14090 18032116
	v_pk_mul_f32 v[146:147], v[22:23], v[146:147]              // 0000000031E8: D3B14092 18032516
	v_pk_mul_f32 v[148:149], v[22:23], v[148:149]              // 0000000031F0: D3B14094 18032916
	v_pk_mul_f32 v[150:151], v[22:23], v[150:151]              // 0000000031F8: D3B14096 18032D16
	v_pk_mul_f32 v[152:153], v[22:23], v[152:153]              // 000000003200: D3B14098 18033116
	v_pk_mul_f32 v[154:155], v[22:23], v[154:155]              // 000000003208: D3B1409A 18033516
	v_pk_mul_f32 v[156:157], v[22:23], v[156:157]              // 000000003210: D3B1409C 18033916
	v_pk_mul_f32 v[158:159], v[22:23], v[158:159]              // 000000003218: D3B1409E 18033D16
	v_pk_mul_f32 v[160:161], v[22:23], v[160:161]              // 000000003220: D3B140A0 18034116
	v_pk_mul_f32 v[162:163], v[22:23], v[162:163]              // 000000003228: D3B140A2 18034516
	v_pk_mul_f32 v[164:165], v[22:23], v[164:165]              // 000000003230: D3B140A4 18034916
	v_pk_mul_f32 v[166:167], v[22:23], v[166:167]              // 000000003238: D3B140A6 18034D16
	s_waitcnt lgkmcnt(0)                                       // 000000003240: BF8CC07F
	v_mfma_f32_16x16x16_bf16 v[40:43], a[144:145], v[32:33], v[40:43]// 000000003244: D3E10028 0CA24190
	ds_read_b128 a[176:179], v7 offset:45312                   // 00000000324C: DBFEB100 B0000007
	ds_read_b128 a[180:183], v7 offset:46336                   // 000000003254: DBFEB500 B4000007
	v_mfma_f32_16x16x16_bf16 v[44:47], a[146:147], v[32:33], v[44:47]// 00000000325C: D3E1002C 0CB24192
	v_mfma_f32_16x16x16_bf16 v[48:51], a[148:149], v[32:33], v[48:51]// 000000003264: D3E10030 0CC24194
	v_mfma_f32_16x16x16_bf16 v[52:55], a[150:151], v[32:33], v[52:55]// 00000000326C: D3E10034 0CD24196
	v_mfma_f32_16x16x16_bf16 v[56:59], a[152:153], v[32:33], v[56:59]// 000000003274: D3E10038 0CE24198
	ds_read_b128 a[184:187], v7 offset:47360                   // 00000000327C: DBFEB900 B8000007
	ds_read_b128 a[188:191], v7 offset:48384                   // 000000003284: DBFEBD00 BC000007
	v_mfma_f32_16x16x16_bf16 v[60:63], a[154:155], v[32:33], v[60:63]// 00000000328C: D3E1003C 0CF2419A
	v_mfma_f32_16x16x16_bf16 v[64:67], a[156:157], v[32:33], v[64:67]// 000000003294: D3E10040 0D02419C
	v_mfma_f32_16x16x16_bf16 v[68:71], a[158:159], v[32:33], v[68:71]// 00000000329C: D3E10044 0D12419E
	v_mfma_f32_16x16x16_bf16 v[72:75], a[160:161], v[32:33], v[72:75]// 0000000032A4: D3E10048 0D2241A0
	ds_read_b128 a[192:195], v7 offset:49408                   // 0000000032AC: DBFEC100 C0000007
	ds_read_b128 a[196:199], v7 offset:50432                   // 0000000032B4: DBFEC500 C4000007
	v_mfma_f32_16x16x16_bf16 v[76:79], a[162:163], v[32:33], v[76:79]// 0000000032BC: D3E1004C 0D3241A2
	v_mfma_f32_16x16x16_bf16 v[80:83], a[164:165], v[32:33], v[80:83]// 0000000032C4: D3E10050 0D4241A4
	v_mfma_f32_16x16x16_bf16 v[84:87], a[166:167], v[32:33], v[84:87]// 0000000032CC: D3E10054 0D5241A6
	v_mfma_f32_16x16x16_bf16 v[88:91], a[168:169], v[32:33], v[88:91]// 0000000032D4: D3E10058 0D6241A8
	ds_read_b128 a[200:203], v7 offset:51456                   // 0000000032DC: DBFEC900 C8000007
	ds_read_b128 a[204:207], v7 offset:52480                   // 0000000032E4: DBFECD00 CC000007
	v_mfma_f32_16x16x16_bf16 v[92:95], a[170:171], v[32:33], v[92:95]// 0000000032EC: D3E1005C 0D7241AA
	v_mfma_f32_16x16x16_bf16 v[96:99], a[172:173], v[32:33], v[96:99]// 0000000032F4: D3E10060 0D8241AC
	v_mfma_f32_16x16x16_bf16 v[100:103], a[174:175], v[32:33], v[100:103]// 0000000032FC: D3E10064 0D9241AE
	s_waitcnt lgkmcnt(4)                                       // 000000003304: BF8CC47F
	v_mfma_f32_16x16x16_bf16 v[104:107], a[176:177], v[32:33], v[104:107]// 000000003308: D3E10068 0DA241B0
	v_mfma_f32_16x16x16_bf16 v[108:111], a[178:179], v[32:33], v[108:111]// 000000003310: D3E1006C 0DB241B2
	v_mfma_f32_16x16x16_bf16 v[112:115], a[180:181], v[32:33], v[112:115]// 000000003318: D3E10070 0DC241B4
	s_waitcnt vmcnt(18) lgkmcnt(0)                             // 000000003320: BF8C4072
	s_barrier                                                  // 000000003324: BF8A0000
	v_mfma_f32_16x16x16_bf16 v[116:119], a[182:183], v[32:33], v[116:119]// 000000003328: D3E10074 0DD241B6
	ds_read_b64 v[20:21], v5                                   // 000000003330: D8EC0000 14000005
	ds_read_b64 v[22:23], v5 offset:4640                       // 000000003338: D8EC1220 16000005
	v_mfma_f32_16x16x16_bf16 v[120:123], a[184:185], v[32:33], v[120:123]// 000000003340: D3E10078 0DE241B8
	ds_read_b64 v[24:25], v5 offset:9280                       // 000000003348: D8EC2440 18000005
	ds_read_b64 v[26:27], v5 offset:13920                      // 000000003350: D8EC3660 1A000005
	v_mfma_f32_16x16x16_bf16 v[124:127], a[186:187], v[32:33], v[124:127]// 000000003358: D3E1007C 0DF241BA
	ds_read_b128 a[144:147], v4                                // 000000003360: DBFE0000 90000004
	v_mfma_f32_16x16x16_bf16 v[128:131], a[188:189], v[32:33], v[128:131]// 000000003368: D3E10080 0E0241BC
	ds_read_b128 a[148:151], v4 offset:64                      // 000000003370: DBFE0040 94000004
	v_mfma_f32_16x16x16_bf16 v[132:135], a[190:191], v[32:33], v[132:135]// 000000003378: D3E10084 0E1241BE
	ds_read_b128 a[152:155], v4 offset:256                     // 000000003380: DBFE0100 98000004
	v_mfma_f32_16x16x16_bf16 v[136:139], a[192:193], v[32:33], v[136:139]// 000000003388: D3E10088 0E2241C0
	ds_read_b128 a[156:159], v4 offset:320                     // 000000003390: DBFE0140 9C000004
	v_mfma_f32_16x16x16_bf16 v[140:143], a[194:195], v[32:33], v[140:143]// 000000003398: D3E1008C 0E3241C2
	ds_read_b128 a[160:163], v4 offset:512                     // 0000000033A0: DBFE0200 A0000004
	v_mfma_f32_16x16x16_bf16 v[144:147], a[196:197], v[32:33], v[144:147]// 0000000033A8: D3E10090 0E4241C4
	ds_read_b128 a[164:167], v4 offset:576                     // 0000000033B0: DBFE0240 A4000004
	v_mfma_f32_16x16x16_bf16 v[148:151], a[198:199], v[32:33], v[148:151]// 0000000033B8: D3E10094 0E5241C6
	ds_read_b128 a[168:171], v4 offset:768                     // 0000000033C0: DBFE0300 A8000004
	v_mfma_f32_16x16x16_bf16 v[152:155], a[200:201], v[32:33], v[152:155]// 0000000033C8: D3E10098 0E6241C8
	ds_read_b128 a[172:175], v4 offset:832                     // 0000000033D0: DBFE0340 AC000004
	v_mfma_f32_16x16x16_bf16 v[156:159], a[202:203], v[32:33], v[156:159]// 0000000033D8: D3E1009C 0E7241CA
	s_waitcnt lgkmcnt(8)                                       // 0000000033E0: BF8CC87F
	v_perm_b32 v168, v22, v20, s53                             // 0000000033E4: D1ED00A8 00D62916
	v_perm_b32 v170, v22, v20, s52                             // 0000000033EC: D1ED00AA 00D22916
	v_perm_b32 v169, v26, v24, s53                             // 0000000033F4: D1ED00A9 00D6311A
	v_perm_b32 v171, v26, v24, s52                             // 0000000033FC: D1ED00AB 00D2311A
	v_mfma_f32_16x16x16_bf16 v[160:163], a[204:205], v[32:33], v[160:163]// 000000003404: D3E100A0 0E8241CC
	ds_write_b128 v6, v[168:171] offset:37120                  // 00000000340C: D9BE9100 0000A806
	v_perm_b32 v168, v23, v21, s53                             // 000000003414: D1ED00A8 00D62B17
	v_perm_b32 v170, v23, v21, s52                             // 00000000341C: D1ED00AA 00D22B17
	v_perm_b32 v169, v27, v25, s53                             // 000000003424: D1ED00A9 00D6331B
	v_perm_b32 v171, v27, v25, s52                             // 00000000342C: D1ED00AB 00D2331B
	v_mfma_f32_16x16x16_bf16 v[164:167], a[206:207], v[32:33], v[164:167]// 000000003434: D3E100A4 0E9241CE
	ds_write_b128 v6, v[168:171] offset:38144                  // 00000000343C: D9BE9500 0000A806
	ds_read_b64 v[20:21], v5 offset:1024                       // 000000003444: D8EC0400 14000005
	ds_read_b64 v[22:23], v5 offset:5664                       // 00000000344C: D8EC1620 16000005
	ds_read_b64 v[24:25], v5 offset:10304                      // 000000003454: D8EC2840 18000005
	ds_read_b64 v[26:27], v5 offset:14944                      // 00000000345C: D8EC3A60 1A000005
	s_nop 0                                                    // 000000003464: BF800000
	s_addk_i32 s70, 0x1                                        // 000000003468: B7460001
	s_cmp_lt_i32 s70, s71                                      // 00000000346C: BF044746
	s_cbranch_scc0 label_091E                                  // 000000003470: BF840001
	s_branch label_0455                                        // 000000003474: BF82FB37

0000000000003478 <label_091E>:
	s_nop 0                                                    // 000000003478: BF800000
	s_nop 0                                                    // 00000000347C: BF800000
	s_branch label_0DEA                                        // 000000003480: BF8204C9

0000000000003484 <label_0921>:
	s_waitcnt lgkmcnt(4)                                       // 000000003484: BF8CC47F
	v_mfma_f32_16x16x16_bf16 v[32:35], a[144:145], a[0:1], 0   // 000000003488: D3E10020 1A020190
	buffer_load_dword v10, v8, s[24:27], 0 offen               // 000000003490: E0501000 80060A08
	v_mfma_f32_16x16x16_bf16 v[32:35], a[146:147], a[2:3], v[32:35]// 000000003498: D3E10020 1C820592
	ds_read_b128 a[176:179], v4 offset:1024                    // 0000000034A0: DBFE0400 B0000004
	ds_read_b128 a[180:183], v4 offset:1088                    // 0000000034A8: DBFE0440 B4000004
	v_mfma_f32_16x16x16_bf16 v[32:35], a[148:149], a[4:5], v[32:35]// 0000000034B0: D3E10020 1C820994
	v_mfma_f32_16x16x16_bf16 v[32:35], a[150:151], a[6:7], v[32:35]// 0000000034B8: D3E10020 1C820D96
	v_mfma_f32_16x16x16_bf16 v[32:35], a[152:153], a[8:9], v[32:35]// 0000000034C0: D3E10020 1C821198
	v_mfma_f32_16x16x16_bf16 v[32:35], a[154:155], a[10:11], v[32:35]// 0000000034C8: D3E10020 1C82159A
	ds_read_b128 a[184:187], v4 offset:1280                    // 0000000034D0: DBFE0500 B8000004
	ds_read_b128 a[188:191], v4 offset:1344                    // 0000000034D8: DBFE0540 BC000004
	v_mfma_f32_16x16x16_bf16 v[32:35], a[156:157], a[12:13], v[32:35]// 0000000034E0: D3E10020 1C82199C
	v_mfma_f32_16x16x16_bf16 v[32:35], a[158:159], a[14:15], v[32:35]// 0000000034E8: D3E10020 1C821D9E
	s_waitcnt lgkmcnt(4)                                       // 0000000034F0: BF8CC47F
	v_mfma_f32_16x16x16_bf16 v[32:35], a[160:161], a[16:17], v[32:35]// 0000000034F4: D3E10020 1C8221A0
	v_mfma_f32_16x16x16_bf16 v[32:35], a[162:163], a[18:19], v[32:35]// 0000000034FC: D3E10020 1C8225A2
	ds_read_b128 a[192:195], v4 offset:1536                    // 000000003504: DBFE0600 C0000004
	ds_read_b128 a[196:199], v4 offset:1600                    // 00000000350C: DBFE0640 C4000004
	v_mfma_f32_16x16x16_bf16 v[32:35], a[164:165], a[20:21], v[32:35]// 000000003514: D3E10020 1C8229A4
	v_mfma_f32_16x16x16_bf16 v[32:35], a[166:167], a[22:23], v[32:35]// 00000000351C: D3E10020 1C822DA6
	v_mfma_f32_16x16x16_bf16 v[32:35], a[168:169], a[24:25], v[32:35]// 000000003524: D3E10020 1C8231A8
	v_mfma_f32_16x16x16_bf16 v[32:35], a[170:171], a[26:27], v[32:35]// 00000000352C: D3E10020 1C8235AA
	ds_read_b128 a[200:203], v4 offset:1792                    // 000000003534: DBFE0700 C8000004
	ds_read_b128 a[204:207], v4 offset:1856                    // 00000000353C: DBFE0740 CC000004
	v_mfma_f32_16x16x16_bf16 v[32:35], a[172:173], a[28:29], v[32:35]// 000000003544: D3E10020 1C8239AC
	v_mfma_f32_16x16x16_bf16 v[32:35], a[174:175], a[30:31], v[32:35]// 00000000354C: D3E10020 1C823DAE
	s_waitcnt lgkmcnt(4)                                       // 000000003554: BF8CC47F
	s_barrier                                                  // 000000003558: BF8A0000
	v_mfma_f32_16x16x16_bf16 v[32:35], a[176:177], a[32:33], v[32:35]// 00000000355C: D3E10020 1C8241B0
	v_mfma_f32_16x16x16_bf16 v[32:35], a[178:179], a[34:35], v[32:35]// 000000003564: D3E10020 1C8245B2
	ds_read_b128 a[208:211], v4 offset:2048                    // 00000000356C: DBFE0800 D0000004
	ds_read_b128 a[212:215], v4 offset:2112                    // 000000003574: DBFE0840 D4000004
	v_mfma_f32_16x16x16_bf16 v[32:35], a[180:181], a[36:37], v[32:35]// 00000000357C: D3E10020 1C8249B4
	buffer_load_dword v18, s[20:23], 0 offen lds               // 000000003584: E0511000 80050012
	s_add_u32 m0, 0, s35                                       // 00000000358C: 807C2380
	v_mfma_f32_16x16x16_bf16 v[32:35], a[182:183], a[38:39], v[32:35]// 000000003590: D3E10020 1C824DB6
	v_perm_b32 v168, v22, v20, s53                             // 000000003598: D1ED00A8 00D62916
	v_perm_b32 v170, v22, v20, s52                             // 0000000035A0: D1ED00AA 00D22916
	v_perm_b32 v169, v26, v24, s53                             // 0000000035A8: D1ED00A9 00D6311A
	v_perm_b32 v171, v26, v24, s52                             // 0000000035B0: D1ED00AB 00D2311A
	v_mfma_f32_16x16x16_bf16 v[32:35], a[184:185], a[40:41], v[32:35]// 0000000035B8: D3E10020 1C8251B8
	buffer_load_dword v19, s[20:23], 0 offen lds               // 0000000035C0: E0511000 80050013
	s_add_u32 m0, 0x80, s34                                    // 0000000035C8: 807C22FF 00000080
	v_mfma_f32_16x16x16_bf16 v[32:35], a[186:187], a[42:43], v[32:35]// 0000000035D0: D3E10020 1C8255BA
	ds_write_b128 v6, v[168:171] offset:45312                  // 0000000035D8: D9BEB100 0000A806
	v_mfma_f32_16x16x16_bf16 v[32:35], a[188:189], a[44:45], v[32:35]// 0000000035E0: D3E10020 1C8259BC
	buffer_load_dword v18, s[20:23], 0 offen offset:128 lds    // 0000000035E8: E0511080 80050012
	s_add_u32 m0, 0x80, s35                                    // 0000000035F0: 807C23FF 00000080
	v_mfma_f32_16x16x16_bf16 v[32:35], a[190:191], a[46:47], v[32:35]// 0000000035F8: D3E10020 1C825DBE
	v_perm_b32 v168, v23, v21, s53                             // 000000003600: D1ED00A8 00D62B17
	v_perm_b32 v170, v23, v21, s52                             // 000000003608: D1ED00AA 00D22B17
	v_perm_b32 v169, v27, v25, s53                             // 000000003610: D1ED00A9 00D6331B
	v_perm_b32 v171, v27, v25, s52                             // 000000003618: D1ED00AB 00D2331B
	s_waitcnt lgkmcnt(1)                                       // 000000003620: BF8CC17F
	v_mfma_f32_16x16x16_bf16 v[32:35], a[192:193], a[48:49], v[32:35]// 000000003624: D3E10020 1C8261C0
	buffer_load_dword v19, s[20:23], 0 offen offset:128 lds    // 00000000362C: E0511080 80050013
	s_add_u32 m0, 0x100, s34                                   // 000000003634: 807C22FF 00000100
	v_mfma_f32_16x16x16_bf16 v[32:35], a[194:195], a[50:51], v[32:35]// 00000000363C: D3E10020 1C8265C2
	ds_write_b128 v6, v[168:171] offset:46336                  // 000000003644: D9BEB500 0000A806
	v_mfma_f32_16x16x16_bf16 v[32:35], a[196:197], a[52:53], v[32:35]// 00000000364C: D3E10020 1C8269C4
	buffer_load_dword v18, s[20:23], 0 offen offset:256 lds    // 000000003654: E0511100 80050012
	s_add_u32 m0, 0x100, s35                                   // 00000000365C: 807C23FF 00000100
	v_mfma_f32_16x16x16_bf16 v[32:35], a[198:199], a[54:55], v[32:35]// 000000003664: D3E10020 1C826DC6
	v_mfma_f32_16x16x16_bf16 v[32:35], a[200:201], a[56:57], v[32:35]// 00000000366C: D3E10020 1C8271C8
	buffer_load_dword v19, s[20:23], 0 offen offset:256 lds    // 000000003674: E0511100 80050013
	s_add_u32 m0, 0x180, s34                                   // 00000000367C: 807C22FF 00000180
	v_mfma_f32_16x16x16_bf16 v[32:35], a[202:203], a[58:59], v[32:35]// 000000003684: D3E10020 1C8275CA
	v_mfma_f32_16x16x16_bf16 v[32:35], a[204:205], a[60:61], v[32:35]// 00000000368C: D3E10020 1C8279CC
	buffer_load_dword v18, s[20:23], 0 offen offset:384 lds    // 000000003694: E0511180 80050012
	s_add_u32 m0, 0x180, s35                                   // 00000000369C: 807C23FF 00000180
	v_mfma_f32_16x16x16_bf16 v[32:35], a[206:207], a[62:63], v[32:35]// 0000000036A4: D3E10020 1C827DCE
	v_mfma_f32_16x16x16_bf16 v[32:35], a[208:209], a[64:65], v[32:35]// 0000000036AC: D3E10020 1C8281D0
	buffer_load_dword v19, s[20:23], 0 offen offset:384 lds    // 0000000036B4: E0511180 80050013
	s_add_u32 m0, 0x200, s34                                   // 0000000036BC: 807C22FF 00000200
	v_mfma_f32_16x16x16_bf16 v[32:35], a[210:211], a[66:67], v[32:35]// 0000000036C4: D3E10020 1C8285D2
	v_mfma_f32_16x16x16_bf16 v[32:35], a[212:213], a[68:69], v[32:35]// 0000000036CC: D3E10020 1C8289D4
	buffer_load_dword v18, s[20:23], 0 offen offset:512 lds    // 0000000036D4: E0511200 80050012
	s_add_u32 m0, 0x200, s35                                   // 0000000036DC: 807C23FF 00000200
	v_mfma_f32_16x16x16_bf16 v[32:35], a[214:215], a[70:71], v[32:35]// 0000000036E4: D3E10020 1C828DD6
	v_add_u32_e32 v8, s73, v8                                  // 0000000036EC: 68101049
	s_cmp_le_i32 s83, s82                                      // 0000000036F0: BF055253
	s_cbranch_scc1 label_09E2                                  // 0000000036F4: BF850024
	v_mov_b32_e32 v25, 0xff800000                              // 0000000036F8: 7E3202FF FF800000
	s_add_u32 s57, s82, 0                                      // 000000003700: 80398052
	v_mov_b32_e32 v24, s57                                     // 000000003704: 7E300239
	v_add_u32_e32 v24, s7, v24                                 // 000000003708: 68303007
	s_sub_u32 s56, s83, 15                                     // 00000000370C: 80B88F53
	v_lshrrev_b32_e32 v20, 4, v0                               // 000000003710: 20280084
	v_mul_i32_i24_e32 v20, 4, v20                              // 000000003714: 0C282884
	v_add_u32_e32 v20, s56, v20                                // 000000003718: 68282838
	v_add_u32_e32 v21, 1, v20                                  // 00000000371C: 682A2881
	v_add_u32_e32 v22, 2, v20                                  // 000000003720: 682C2882
	v_add_u32_e32 v23, 3, v20                                  // 000000003724: 682E2883
	v_cmp_le_u32_e64 s[38:39], v20, v24                        // 000000003728: D0CB0026 00023114
	v_add_u32_e32 v20, 64, v20                                 // 000000003730: 682828C0
	s_nop 0                                                    // 000000003734: BF800000
	v_cndmask_b32_e64 v32, v25, v32, s[38:39]                  // 000000003738: D1000020 009A4119
	v_cmp_le_u32_e64 s[38:39], v21, v24                        // 000000003740: D0CB0026 00023115
	v_add_u32_e32 v21, 64, v21                                 // 000000003748: 682A2AC0
	s_nop 0                                                    // 00000000374C: BF800000
	v_cndmask_b32_e64 v33, v25, v33, s[38:39]                  // 000000003750: D1000021 009A4319
	v_cmp_le_u32_e64 s[38:39], v22, v24                        // 000000003758: D0CB0026 00023116
	v_add_u32_e32 v22, 64, v22                                 // 000000003760: 682C2CC0
	s_nop 0                                                    // 000000003764: BF800000
	v_cndmask_b32_e64 v34, v25, v34, s[38:39]                  // 000000003768: D1000022 009A4519
	v_cmp_le_u32_e64 s[38:39], v23, v24                        // 000000003770: D0CB0026 00023117
	v_add_u32_e32 v23, 64, v23                                 // 000000003778: 682E2EC0
	s_nop 0                                                    // 00000000377C: BF800000
	v_cndmask_b32_e64 v35, v25, v35, s[38:39]                  // 000000003780: D1000023 009A4719

0000000000003788 <label_09E2>:
	s_waitcnt lgkmcnt(0)                                       // 000000003788: BF8CC07F
	s_barrier                                                  // 00000000378C: BF8A0000
	v_max3_f32 v24, v32, v33, v32                              // 000000003790: D1D30018 04824320
	v_max3_f32 v24, v34, v35, v24                              // 000000003798: D1D30018 04624722
	ds_write_b32 v3, v24 offset:53504                          // 0000000037A0: D81AD100 00001803
	buffer_load_dword v19, s[20:23], 0 offen offset:512 lds    // 0000000037A8: E0511200 80050013
	s_add_u32 m0, 0x280, s34                                   // 0000000037B0: 807C22FF 00000280
	buffer_load_dword v18, s[20:23], 0 offen offset:640 lds    // 0000000037B8: E0511280 80050012
	s_add_u32 m0, 0x280, s35                                   // 0000000037C0: 807C23FF 00000280
	s_waitcnt lgkmcnt(0)                                       // 0000000037C8: BF8CC07F
	ds_read_b32 v20, v2 offset:53504                           // 0000000037CC: D86CD100 14000002
	ds_read_b32 v21, v2 offset:53568                           // 0000000037D4: D86CD140 15000002
	ds_read_b32 v22, v2 offset:53632                           // 0000000037DC: D86CD180 16000002
	ds_read_b32 v23, v2 offset:53696                           // 0000000037E4: D86CD1C0 17000002
	buffer_load_dword v19, s[20:23], 0 offen offset:640 lds    // 0000000037EC: E0511280 80050013
	s_add_u32 m0, 0x300, s34                                   // 0000000037F4: 807C22FF 00000300
	buffer_load_dword v18, s[20:23], 0 offen offset:768 lds    // 0000000037FC: E0511300 80050012
	s_add_u32 m0, 0x300, s35                                   // 000000003804: 807C23FF 00000300
	buffer_load_dword v19, s[20:23], 0 offen offset:768 lds    // 00000000380C: E0511300 80050013
	s_add_u32 m0, 0x380, s34                                   // 000000003814: 807C22FF 00000380
	s_waitcnt lgkmcnt(0)                                       // 00000000381C: BF8CC07F
	v_max3_f32 v24, v20, v21, v24                              // 000000003820: D1D30018 04622B14
	v_max3_f32 v24, v22, v23, v24                              // 000000003828: D1D30018 04622F16
	buffer_load_dword v18, s[20:23], 0 offen offset:896 lds    // 000000003830: E0511380 80050012
	s_add_u32 m0, 0x380, s35                                   // 000000003838: 807C23FF 00000380
	buffer_load_dword v19, s[20:23], 0 offen offset:896 lds    // 000000003840: E0511380 80050013
	s_add_u32 m0, 0x400, s34                                   // 000000003848: 807C22FF 00000400
	buffer_load_dword v18, s[20:23], 0 offen offset:1024 lds   // 000000003850: E0511400 80050012
	s_add_u32 m0, 0x400, s35                                   // 000000003858: 807C23FF 00000400
	ds_read_b128 a[144:147], v7 offset:37120                   // 000000003860: DBFE9100 90000007
	ds_read_b128 a[148:151], v7 offset:38144                   // 000000003868: DBFE9500 94000007
	buffer_load_dword v19, s[20:23], 0 offen offset:1024 lds   // 000000003870: E0511400 80050013
	s_add_u32 m0, 0x480, s34                                   // 000000003878: 807C22FF 00000480
	ds_read_b128 a[152:155], v7 offset:39168                   // 000000003880: DBFE9900 98000007
	ds_read_b128 a[156:159], v7 offset:40192                   // 000000003888: DBFE9D00 9C000007
	ds_read_b128 a[160:163], v7 offset:41216                   // 000000003890: DBFEA100 A0000007
	ds_read_b128 a[164:167], v7 offset:42240                   // 000000003898: DBFEA500 A4000007
	ds_read_b128 a[168:171], v7 offset:43264                   // 0000000038A0: DBFEA900 A8000007
	ds_read_b128 a[172:175], v7 offset:44288                   // 0000000038A8: DBFEAD00 AC000007
	v_mov_b32_e32 v25, 0xff7fffff                              // 0000000038B0: 7E3202FF FF7FFFFF
	v_cmp_eq_u32_e64 s[38:39], v25, v12                        // 0000000038B8: D0CA0026 00021919
	v_max_f32_e32 v20, v24, v12                                // 0000000038C0: 16281918
	v_sub_f32_e32 v16, v12, v20                                // 0000000038C4: 0420290C
	v_cndmask_b32_e64 v16, v16, 0, s[38:39]                    // 0000000038C8: D1000010 00990110
	v_mov_b32_e32 v12, v20                                     // 0000000038D0: 7E180314
	v_mul_f32_e32 v21, s5, v20                                 // 0000000038D4: 0A2A2805
	v_mul_f32_e32 v16, s5, v16                                 // 0000000038D8: 0A202005
	v_exp_f32_e32 v16, v16                                     // 0000000038DC: 7E204110
	v_fma_f32 v32, v32, s5, -v21                               // 0000000038E0: D1CB0020 84540B20
	v_fma_f32 v33, v33, s5, -v21                               // 0000000038E8: D1CB0021 84540B21
	v_fma_f32 v34, v34, s5, -v21                               // 0000000038F0: D1CB0022 84540B22
	v_fma_f32 v35, v35, s5, -v21                               // 0000000038F8: D1CB0023 84540B23
	v_exp_f32_e32 v32, v32                                     // 000000003900: 7E404120
	v_exp_f32_e32 v33, v33                                     // 000000003904: 7E424121
	v_exp_f32_e32 v34, v34                                     // 000000003908: 7E444122
	v_exp_f32_e32 v35, v35                                     // 00000000390C: 7E464123
	v_mul_f32_e32 v14, v16, v14                                // 000000003910: 0A1C1D10
	v_mov_b32_e32 v22, v32                                     // 000000003914: 7E2C0320
	v_add_f32_e32 v22, v33, v22                                // 000000003918: 022C2D21
	v_add_f32_e32 v22, v34, v22                                // 00000000391C: 022C2D22
	v_add_f32_e32 v22, v35, v22                                // 000000003920: 022C2D23
	v_add_f32_e32 v14, v22, v14                                // 000000003924: 021C1D16
	v_mov_b32_e32 v29, 0xffff0000                              // 000000003928: 7E3A02FF FFFF0000
	v_mov_b32_e32 v30, 0x7fff0000                              // 000000003930: 7E3C02FF 7FFF0000
	v_mov_b32_e32 v31, 0x7fff                                  // 000000003938: 7E3E02FF 00007FFF
	v_cmp_u_f32_e64 s[38:39], v32, v32                         // 000000003940: D0480026 00024120
	v_add3_u32 v28, v32, v31, 1                                // 000000003948: D1FF001C 02063F20
	v_cndmask_b32_e64 v20, v28, v30, s[38:39]                  // 000000003950: D1000014 009A3D1C
	v_cmp_u_f32_e64 s[38:39], v33, v33                         // 000000003958: D0480026 00024321
	v_add3_u32 v28, v33, v31, 1                                // 000000003960: D1FF001C 02063F21
	v_cndmask_b32_e64 v21, v28, v30, s[38:39]                  // 000000003968: D1000015 009A3D1C
	v_perm_b32 v32, v21, v20, s52                              // 000000003970: D1ED0020 00D22915
	v_cmp_u_f32_e64 s[38:39], v34, v34                         // 000000003978: D0480026 00024522
	v_add3_u32 v28, v34, v31, 1                                // 000000003980: D1FF001C 02063F22
	v_cndmask_b32_e64 v20, v28, v30, s[38:39]                  // 000000003988: D1000014 009A3D1C
	v_cmp_u_f32_e64 s[38:39], v35, v35                         // 000000003990: D0480026 00024723
	v_add3_u32 v28, v35, v31, 1                                // 000000003998: D1FF001C 02063F23
	v_cndmask_b32_e64 v21, v28, v30, s[38:39]                  // 0000000039A0: D1000015 009A3D1C
	v_perm_b32 v33, v21, v20, s52                              // 0000000039A8: D1ED0021 00D22915
	s_nop 2                                                    // 0000000039B0: BF800002
	s_add_u32 s83, s84, s83                                    // 0000000039B4: 80535354
	s_nop 0                                                    // 0000000039B8: BF800000
	v_mul_u32_u24_dpp v18, v11, v9 row_newbcast:0 row_mask:0xf bank_mask:0xf// 0000000039BC: 102412FA FF01500B
	v_mul_u32_u24_dpp v19, v11, v9 row_newbcast:8 row_mask:0xf bank_mask:0xf// 0000000039C4: 102612FA FF01580B
	v_add_u32_e32 v18, v18, v1                                 // 0000000039CC: 68240312
	v_add_u32_e32 v19, v19, v1                                 // 0000000039D0: 68260313
	s_mov_b32 m0, s36                                          // 0000000039D4: BEFC0024
	v_mov_b32_e32 v22, v16                                     // 0000000039D8: 7E2C0310
	v_mov_b32_e32 v23, v16                                     // 0000000039DC: 7E2E0310
	v_pk_mul_f32 v[40:41], v[22:23], v[40:41]                  // 0000000039E0: D3B14028 18025116
	v_pk_mul_f32 v[42:43], v[22:23], v[42:43]                  // 0000000039E8: D3B1402A 18025516
	v_pk_mul_f32 v[44:45], v[22:23], v[44:45]                  // 0000000039F0: D3B1402C 18025916
	v_pk_mul_f32 v[46:47], v[22:23], v[46:47]                  // 0000000039F8: D3B1402E 18025D16
	v_pk_mul_f32 v[48:49], v[22:23], v[48:49]                  // 000000003A00: D3B14030 18026116
	v_pk_mul_f32 v[50:51], v[22:23], v[50:51]                  // 000000003A08: D3B14032 18026516
	v_pk_mul_f32 v[52:53], v[22:23], v[52:53]                  // 000000003A10: D3B14034 18026916
	v_pk_mul_f32 v[54:55], v[22:23], v[54:55]                  // 000000003A18: D3B14036 18026D16
	v_pk_mul_f32 v[56:57], v[22:23], v[56:57]                  // 000000003A20: D3B14038 18027116
	v_pk_mul_f32 v[58:59], v[22:23], v[58:59]                  // 000000003A28: D3B1403A 18027516
	v_pk_mul_f32 v[60:61], v[22:23], v[60:61]                  // 000000003A30: D3B1403C 18027916
	v_pk_mul_f32 v[62:63], v[22:23], v[62:63]                  // 000000003A38: D3B1403E 18027D16
	v_pk_mul_f32 v[64:65], v[22:23], v[64:65]                  // 000000003A40: D3B14040 18028116
	v_pk_mul_f32 v[66:67], v[22:23], v[66:67]                  // 000000003A48: D3B14042 18028516
	v_pk_mul_f32 v[68:69], v[22:23], v[68:69]                  // 000000003A50: D3B14044 18028916
	v_pk_mul_f32 v[70:71], v[22:23], v[70:71]                  // 000000003A58: D3B14046 18028D16
	v_pk_mul_f32 v[72:73], v[22:23], v[72:73]                  // 000000003A60: D3B14048 18029116
	v_pk_mul_f32 v[74:75], v[22:23], v[74:75]                  // 000000003A68: D3B1404A 18029516
	v_pk_mul_f32 v[76:77], v[22:23], v[76:77]                  // 000000003A70: D3B1404C 18029916
	v_pk_mul_f32 v[78:79], v[22:23], v[78:79]                  // 000000003A78: D3B1404E 18029D16
	v_pk_mul_f32 v[80:81], v[22:23], v[80:81]                  // 000000003A80: D3B14050 1802A116
	v_pk_mul_f32 v[82:83], v[22:23], v[82:83]                  // 000000003A88: D3B14052 1802A516
	v_pk_mul_f32 v[84:85], v[22:23], v[84:85]                  // 000000003A90: D3B14054 1802A916
	v_pk_mul_f32 v[86:87], v[22:23], v[86:87]                  // 000000003A98: D3B14056 1802AD16
	v_pk_mul_f32 v[88:89], v[22:23], v[88:89]                  // 000000003AA0: D3B14058 1802B116
	v_pk_mul_f32 v[90:91], v[22:23], v[90:91]                  // 000000003AA8: D3B1405A 1802B516
	v_pk_mul_f32 v[92:93], v[22:23], v[92:93]                  // 000000003AB0: D3B1405C 1802B916
	v_pk_mul_f32 v[94:95], v[22:23], v[94:95]                  // 000000003AB8: D3B1405E 1802BD16
	v_pk_mul_f32 v[96:97], v[22:23], v[96:97]                  // 000000003AC0: D3B14060 1802C116
	v_pk_mul_f32 v[98:99], v[22:23], v[98:99]                  // 000000003AC8: D3B14062 1802C516
	v_pk_mul_f32 v[100:101], v[22:23], v[100:101]              // 000000003AD0: D3B14064 1802C916
	v_pk_mul_f32 v[102:103], v[22:23], v[102:103]              // 000000003AD8: D3B14066 1802CD16
	v_pk_mul_f32 v[104:105], v[22:23], v[104:105]              // 000000003AE0: D3B14068 1802D116
	v_pk_mul_f32 v[106:107], v[22:23], v[106:107]              // 000000003AE8: D3B1406A 1802D516
	v_pk_mul_f32 v[108:109], v[22:23], v[108:109]              // 000000003AF0: D3B1406C 1802D916
	v_pk_mul_f32 v[110:111], v[22:23], v[110:111]              // 000000003AF8: D3B1406E 1802DD16
	v_pk_mul_f32 v[112:113], v[22:23], v[112:113]              // 000000003B00: D3B14070 1802E116
	v_pk_mul_f32 v[114:115], v[22:23], v[114:115]              // 000000003B08: D3B14072 1802E516
	v_pk_mul_f32 v[116:117], v[22:23], v[116:117]              // 000000003B10: D3B14074 1802E916
	v_pk_mul_f32 v[118:119], v[22:23], v[118:119]              // 000000003B18: D3B14076 1802ED16
	v_pk_mul_f32 v[120:121], v[22:23], v[120:121]              // 000000003B20: D3B14078 1802F116
	v_pk_mul_f32 v[122:123], v[22:23], v[122:123]              // 000000003B28: D3B1407A 1802F516
	v_pk_mul_f32 v[124:125], v[22:23], v[124:125]              // 000000003B30: D3B1407C 1802F916
	v_pk_mul_f32 v[126:127], v[22:23], v[126:127]              // 000000003B38: D3B1407E 1802FD16
	v_pk_mul_f32 v[128:129], v[22:23], v[128:129]              // 000000003B40: D3B14080 18030116
	v_pk_mul_f32 v[130:131], v[22:23], v[130:131]              // 000000003B48: D3B14082 18030516
	v_pk_mul_f32 v[132:133], v[22:23], v[132:133]              // 000000003B50: D3B14084 18030916
	v_pk_mul_f32 v[134:135], v[22:23], v[134:135]              // 000000003B58: D3B14086 18030D16
	v_pk_mul_f32 v[136:137], v[22:23], v[136:137]              // 000000003B60: D3B14088 18031116
	v_pk_mul_f32 v[138:139], v[22:23], v[138:139]              // 000000003B68: D3B1408A 18031516
	v_pk_mul_f32 v[140:141], v[22:23], v[140:141]              // 000000003B70: D3B1408C 18031916
	v_pk_mul_f32 v[142:143], v[22:23], v[142:143]              // 000000003B78: D3B1408E 18031D16
	v_pk_mul_f32 v[144:145], v[22:23], v[144:145]              // 000000003B80: D3B14090 18032116
	v_pk_mul_f32 v[146:147], v[22:23], v[146:147]              // 000000003B88: D3B14092 18032516
	v_pk_mul_f32 v[148:149], v[22:23], v[148:149]              // 000000003B90: D3B14094 18032916
	v_pk_mul_f32 v[150:151], v[22:23], v[150:151]              // 000000003B98: D3B14096 18032D16
	v_pk_mul_f32 v[152:153], v[22:23], v[152:153]              // 000000003BA0: D3B14098 18033116
	v_pk_mul_f32 v[154:155], v[22:23], v[154:155]              // 000000003BA8: D3B1409A 18033516
	v_pk_mul_f32 v[156:157], v[22:23], v[156:157]              // 000000003BB0: D3B1409C 18033916
	v_pk_mul_f32 v[158:159], v[22:23], v[158:159]              // 000000003BB8: D3B1409E 18033D16
	v_pk_mul_f32 v[160:161], v[22:23], v[160:161]              // 000000003BC0: D3B140A0 18034116
	v_pk_mul_f32 v[162:163], v[22:23], v[162:163]              // 000000003BC8: D3B140A2 18034516
	v_pk_mul_f32 v[164:165], v[22:23], v[164:165]              // 000000003BD0: D3B140A4 18034916
	v_pk_mul_f32 v[166:167], v[22:23], v[166:167]              // 000000003BD8: D3B140A6 18034D16
	s_waitcnt lgkmcnt(0)                                       // 000000003BE0: BF8CC07F
	v_mfma_f32_16x16x16_bf16 v[40:43], a[144:145], v[32:33], v[40:43]// 000000003BE4: D3E10028 0CA24190
	v_mfma_f32_16x16x16_bf16 v[44:47], a[146:147], v[32:33], v[44:47]// 000000003BEC: D3E1002C 0CB24192
	ds_read_b128 a[176:179], v7 offset:45312                   // 000000003BF4: DBFEB100 B0000007
	ds_read_b128 a[180:183], v7 offset:46336                   // 000000003BFC: DBFEB500 B4000007
	v_mfma_f32_16x16x16_bf16 v[48:51], a[148:149], v[32:33], v[48:51]// 000000003C04: D3E10030 0CC24194
	v_mfma_f32_16x16x16_bf16 v[52:55], a[150:151], v[32:33], v[52:55]// 000000003C0C: D3E10034 0CD24196
	v_mfma_f32_16x16x16_bf16 v[56:59], a[152:153], v[32:33], v[56:59]// 000000003C14: D3E10038 0CE24198
	v_mfma_f32_16x16x16_bf16 v[60:63], a[154:155], v[32:33], v[60:63]// 000000003C1C: D3E1003C 0CF2419A
	ds_read_b128 a[184:187], v7 offset:47360                   // 000000003C24: DBFEB900 B8000007
	ds_read_b128 a[188:191], v7 offset:48384                   // 000000003C2C: DBFEBD00 BC000007
	v_mfma_f32_16x16x16_bf16 v[64:67], a[156:157], v[32:33], v[64:67]// 000000003C34: D3E10040 0D02419C
	v_mfma_f32_16x16x16_bf16 v[68:71], a[158:159], v[32:33], v[68:71]// 000000003C3C: D3E10044 0D12419E
	v_mfma_f32_16x16x16_bf16 v[72:75], a[160:161], v[32:33], v[72:75]// 000000003C44: D3E10048 0D2241A0
	v_mfma_f32_16x16x16_bf16 v[76:79], a[162:163], v[32:33], v[76:79]// 000000003C4C: D3E1004C 0D3241A2
	ds_read_b128 a[192:195], v7 offset:49408                   // 000000003C54: DBFEC100 C0000007
	ds_read_b128 a[196:199], v7 offset:50432                   // 000000003C5C: DBFEC500 C4000007
	v_mfma_f32_16x16x16_bf16 v[80:83], a[164:165], v[32:33], v[80:83]// 000000003C64: D3E10050 0D4241A4
	v_mfma_f32_16x16x16_bf16 v[84:87], a[166:167], v[32:33], v[84:87]// 000000003C6C: D3E10054 0D5241A6
	v_mfma_f32_16x16x16_bf16 v[88:91], a[168:169], v[32:33], v[88:91]// 000000003C74: D3E10058 0D6241A8
	v_mfma_f32_16x16x16_bf16 v[92:95], a[170:171], v[32:33], v[92:95]// 000000003C7C: D3E1005C 0D7241AA
	ds_read_b128 a[200:203], v7 offset:51456                   // 000000003C84: DBFEC900 C8000007
	ds_read_b128 a[204:207], v7 offset:52480                   // 000000003C8C: DBFECD00 CC000007
	v_mfma_f32_16x16x16_bf16 v[96:99], a[172:173], v[32:33], v[96:99]// 000000003C94: D3E10060 0D8241AC
	v_mfma_f32_16x16x16_bf16 v[100:103], a[174:175], v[32:33], v[100:103]// 000000003C9C: D3E10064 0D9241AE
	s_waitcnt lgkmcnt(4)                                       // 000000003CA4: BF8CC47F
	v_mfma_f32_16x16x16_bf16 v[104:107], a[176:177], v[32:33], v[104:107]// 000000003CA8: D3E10068 0DA241B0
	v_mfma_f32_16x16x16_bf16 v[108:111], a[178:179], v[32:33], v[108:111]// 000000003CB0: D3E1006C 0DB241B2
	v_mfma_f32_16x16x16_bf16 v[112:115], a[180:181], v[32:33], v[112:115]// 000000003CB8: D3E10070 0DC241B4
	s_waitcnt vmcnt(18) lgkmcnt(0)                             // 000000003CC0: BF8C4072
	s_barrier                                                  // 000000003CC4: BF8A0000
	v_mfma_f32_16x16x16_bf16 v[116:119], a[182:183], v[32:33], v[116:119]// 000000003CC8: D3E10074 0DD241B6
	ds_read_b64 v[20:21], v5 offset:18560                      // 000000003CD0: D8EC4880 14000005
	ds_read_b64 v[22:23], v5 offset:23200                      // 000000003CD8: D8EC5AA0 16000005
	v_mfma_f32_16x16x16_bf16 v[120:123], a[184:185], v[32:33], v[120:123]// 000000003CE0: D3E10078 0DE241B8
	ds_read_b64 v[24:25], v5 offset:27840                      // 000000003CE8: D8EC6CC0 18000005
	ds_read_b64 v[26:27], v5 offset:32480                      // 000000003CF0: D8EC7EE0 1A000005
	v_mfma_f32_16x16x16_bf16 v[124:127], a[186:187], v[32:33], v[124:127]// 000000003CF8: D3E1007C 0DF241BA
	ds_read_b128 a[144:147], v4 offset:18560                   // 000000003D00: DBFE4880 90000004
	v_mfma_f32_16x16x16_bf16 v[128:131], a[188:189], v[32:33], v[128:131]// 000000003D08: D3E10080 0E0241BC
	ds_read_b128 a[148:151], v4 offset:18624                   // 000000003D10: DBFE48C0 94000004
	v_mfma_f32_16x16x16_bf16 v[132:135], a[190:191], v[32:33], v[132:135]// 000000003D18: D3E10084 0E1241BE
	ds_read_b128 a[152:155], v4 offset:18816                   // 000000003D20: DBFE4980 98000004
	v_mfma_f32_16x16x16_bf16 v[136:139], a[192:193], v[32:33], v[136:139]// 000000003D28: D3E10088 0E2241C0
	ds_read_b128 a[156:159], v4 offset:18880                   // 000000003D30: DBFE49C0 9C000004
	v_mfma_f32_16x16x16_bf16 v[140:143], a[194:195], v[32:33], v[140:143]// 000000003D38: D3E1008C 0E3241C2
	ds_read_b128 a[160:163], v4 offset:19072                   // 000000003D40: DBFE4A80 A0000004
	v_mfma_f32_16x16x16_bf16 v[144:147], a[196:197], v[32:33], v[144:147]// 000000003D48: D3E10090 0E4241C4
	ds_read_b128 a[164:167], v4 offset:19136                   // 000000003D50: DBFE4AC0 A4000004
	v_mfma_f32_16x16x16_bf16 v[148:151], a[198:199], v[32:33], v[148:151]// 000000003D58: D3E10094 0E5241C6
	ds_read_b128 a[168:171], v4 offset:19328                   // 000000003D60: DBFE4B80 A8000004
	v_mfma_f32_16x16x16_bf16 v[152:155], a[200:201], v[32:33], v[152:155]// 000000003D68: D3E10098 0E6241C8
	ds_read_b128 a[172:175], v4 offset:19392                   // 000000003D70: DBFE4BC0 AC000004
	v_mfma_f32_16x16x16_bf16 v[156:159], a[202:203], v[32:33], v[156:159]// 000000003D78: D3E1009C 0E7241CA
	s_waitcnt lgkmcnt(8)                                       // 000000003D80: BF8CC87F
	v_perm_b32 v168, v22, v20, s53                             // 000000003D84: D1ED00A8 00D62916
	v_perm_b32 v170, v22, v20, s52                             // 000000003D8C: D1ED00AA 00D22916
	v_perm_b32 v169, v26, v24, s53                             // 000000003D94: D1ED00A9 00D6311A
	v_perm_b32 v171, v26, v24, s52                             // 000000003D9C: D1ED00AB 00D2311A
	v_mfma_f32_16x16x16_bf16 v[160:163], a[204:205], v[32:33], v[160:163]// 000000003DA4: D3E100A0 0E8241CC
	ds_write_b128 v6, v[168:171] offset:37120                  // 000000003DAC: D9BE9100 0000A806
	v_perm_b32 v168, v23, v21, s53                             // 000000003DB4: D1ED00A8 00D62B17
	v_perm_b32 v170, v23, v21, s52                             // 000000003DBC: D1ED00AA 00D22B17
	v_perm_b32 v169, v27, v25, s53                             // 000000003DC4: D1ED00A9 00D6331B
	v_perm_b32 v171, v27, v25, s52                             // 000000003DCC: D1ED00AB 00D2331B
	v_mfma_f32_16x16x16_bf16 v[164:167], a[206:207], v[32:33], v[164:167]// 000000003DD4: D3E100A4 0E9241CE
	ds_write_b128 v6, v[168:171] offset:38144                  // 000000003DDC: D9BE9500 0000A806
	ds_read_b64 v[20:21], v5 offset:19584                      // 000000003DE4: D8EC4C80 14000005
	ds_read_b64 v[22:23], v5 offset:24224                      // 000000003DEC: D8EC5EA0 16000005
	ds_read_b64 v[24:25], v5 offset:28864                      // 000000003DF4: D8EC70C0 18000005
	ds_read_b64 v[26:27], v5 offset:33504                      // 000000003DFC: D8EC82E0 1A000005
	s_nop 0                                                    // 000000003E04: BF800000
	s_addk_i32 s70, 0x1                                        // 000000003E08: B7460001
	s_cmp_lt_i32 s70, s71                                      // 000000003E0C: BF044746
	s_cbranch_scc0 label_091E                                  // 000000003E10: BF84FD99
	s_waitcnt lgkmcnt(4)                                       // 000000003E14: BF8CC47F
	v_mfma_f32_16x16x16_bf16 v[32:35], a[144:145], a[0:1], 0   // 000000003E18: D3E10020 1A020190
	buffer_load_dword v11, v8, s[24:27], 0 offen               // 000000003E20: E0501000 80060B08
	v_mfma_f32_16x16x16_bf16 v[32:35], a[146:147], a[2:3], v[32:35]// 000000003E28: D3E10020 1C820592
	ds_read_b128 a[176:179], v4 offset:19584                   // 000000003E30: DBFE4C80 B0000004
	ds_read_b128 a[180:183], v4 offset:19648                   // 000000003E38: DBFE4CC0 B4000004
	v_mfma_f32_16x16x16_bf16 v[32:35], a[148:149], a[4:5], v[32:35]// 000000003E40: D3E10020 1C820994
	v_mfma_f32_16x16x16_bf16 v[32:35], a[150:151], a[6:7], v[32:35]// 000000003E48: D3E10020 1C820D96
	v_mfma_f32_16x16x16_bf16 v[32:35], a[152:153], a[8:9], v[32:35]// 000000003E50: D3E10020 1C821198
	v_mfma_f32_16x16x16_bf16 v[32:35], a[154:155], a[10:11], v[32:35]// 000000003E58: D3E10020 1C82159A
	ds_read_b128 a[184:187], v4 offset:19840                   // 000000003E60: DBFE4D80 B8000004
	ds_read_b128 a[188:191], v4 offset:19904                   // 000000003E68: DBFE4DC0 BC000004
	v_mfma_f32_16x16x16_bf16 v[32:35], a[156:157], a[12:13], v[32:35]// 000000003E70: D3E10020 1C82199C
	v_mfma_f32_16x16x16_bf16 v[32:35], a[158:159], a[14:15], v[32:35]// 000000003E78: D3E10020 1C821D9E
	s_waitcnt lgkmcnt(4)                                       // 000000003E80: BF8CC47F
	v_mfma_f32_16x16x16_bf16 v[32:35], a[160:161], a[16:17], v[32:35]// 000000003E84: D3E10020 1C8221A0
	v_mfma_f32_16x16x16_bf16 v[32:35], a[162:163], a[18:19], v[32:35]// 000000003E8C: D3E10020 1C8225A2
	ds_read_b128 a[192:195], v4 offset:20096                   // 000000003E94: DBFE4E80 C0000004
	ds_read_b128 a[196:199], v4 offset:20160                   // 000000003E9C: DBFE4EC0 C4000004
	v_mfma_f32_16x16x16_bf16 v[32:35], a[164:165], a[20:21], v[32:35]// 000000003EA4: D3E10020 1C8229A4
	v_mfma_f32_16x16x16_bf16 v[32:35], a[166:167], a[22:23], v[32:35]// 000000003EAC: D3E10020 1C822DA6
	v_mfma_f32_16x16x16_bf16 v[32:35], a[168:169], a[24:25], v[32:35]// 000000003EB4: D3E10020 1C8231A8
	v_mfma_f32_16x16x16_bf16 v[32:35], a[170:171], a[26:27], v[32:35]// 000000003EBC: D3E10020 1C8235AA
	ds_read_b128 a[200:203], v4 offset:20352                   // 000000003EC4: DBFE4F80 C8000004
	ds_read_b128 a[204:207], v4 offset:20416                   // 000000003ECC: DBFE4FC0 CC000004
	v_mfma_f32_16x16x16_bf16 v[32:35], a[172:173], a[28:29], v[32:35]// 000000003ED4: D3E10020 1C8239AC
	v_mfma_f32_16x16x16_bf16 v[32:35], a[174:175], a[30:31], v[32:35]// 000000003EDC: D3E10020 1C823DAE
	s_waitcnt lgkmcnt(4)                                       // 000000003EE4: BF8CC47F
	s_barrier                                                  // 000000003EE8: BF8A0000
	v_mfma_f32_16x16x16_bf16 v[32:35], a[176:177], a[32:33], v[32:35]// 000000003EEC: D3E10020 1C8241B0
	v_mfma_f32_16x16x16_bf16 v[32:35], a[178:179], a[34:35], v[32:35]// 000000003EF4: D3E10020 1C8245B2
	ds_read_b128 a[208:211], v4 offset:20608                   // 000000003EFC: DBFE5080 D0000004
	ds_read_b128 a[212:215], v4 offset:20672                   // 000000003F04: DBFE50C0 D4000004
	v_mfma_f32_16x16x16_bf16 v[32:35], a[180:181], a[36:37], v[32:35]// 000000003F0C: D3E10020 1C8249B4
	buffer_load_dword v18, s[20:23], 0 offen lds               // 000000003F14: E0511000 80050012
	s_add_u32 m0, 0, s37                                       // 000000003F1C: 807C2580
	v_mfma_f32_16x16x16_bf16 v[32:35], a[182:183], a[38:39], v[32:35]// 000000003F20: D3E10020 1C824DB6
	v_perm_b32 v168, v22, v20, s53                             // 000000003F28: D1ED00A8 00D62916
	v_perm_b32 v170, v22, v20, s52                             // 000000003F30: D1ED00AA 00D22916
	v_perm_b32 v169, v26, v24, s53                             // 000000003F38: D1ED00A9 00D6311A
	v_perm_b32 v171, v26, v24, s52                             // 000000003F40: D1ED00AB 00D2311A
	v_mfma_f32_16x16x16_bf16 v[32:35], a[184:185], a[40:41], v[32:35]// 000000003F48: D3E10020 1C8251B8
	buffer_load_dword v19, s[20:23], 0 offen lds               // 000000003F50: E0511000 80050013
	s_add_u32 m0, 0x80, s36                                    // 000000003F58: 807C24FF 00000080
	v_mfma_f32_16x16x16_bf16 v[32:35], a[186:187], a[42:43], v[32:35]// 000000003F60: D3E10020 1C8255BA
	ds_write_b128 v6, v[168:171] offset:45312                  // 000000003F68: D9BEB100 0000A806
	v_mfma_f32_16x16x16_bf16 v[32:35], a[188:189], a[44:45], v[32:35]// 000000003F70: D3E10020 1C8259BC
	buffer_load_dword v18, s[20:23], 0 offen offset:128 lds    // 000000003F78: E0511080 80050012
	s_add_u32 m0, 0x80, s37                                    // 000000003F80: 807C25FF 00000080
	v_mfma_f32_16x16x16_bf16 v[32:35], a[190:191], a[46:47], v[32:35]// 000000003F88: D3E10020 1C825DBE
	v_perm_b32 v168, v23, v21, s53                             // 000000003F90: D1ED00A8 00D62B17
	v_perm_b32 v170, v23, v21, s52                             // 000000003F98: D1ED00AA 00D22B17
	v_perm_b32 v169, v27, v25, s53                             // 000000003FA0: D1ED00A9 00D6331B
	v_perm_b32 v171, v27, v25, s52                             // 000000003FA8: D1ED00AB 00D2331B
	s_waitcnt lgkmcnt(1)                                       // 000000003FB0: BF8CC17F
	v_mfma_f32_16x16x16_bf16 v[32:35], a[192:193], a[48:49], v[32:35]// 000000003FB4: D3E10020 1C8261C0
	buffer_load_dword v19, s[20:23], 0 offen offset:128 lds    // 000000003FBC: E0511080 80050013
	s_add_u32 m0, 0x100, s36                                   // 000000003FC4: 807C24FF 00000100
	v_mfma_f32_16x16x16_bf16 v[32:35], a[194:195], a[50:51], v[32:35]// 000000003FCC: D3E10020 1C8265C2
	ds_write_b128 v6, v[168:171] offset:46336                  // 000000003FD4: D9BEB500 0000A806
	v_mfma_f32_16x16x16_bf16 v[32:35], a[196:197], a[52:53], v[32:35]// 000000003FDC: D3E10020 1C8269C4
	buffer_load_dword v18, s[20:23], 0 offen offset:256 lds    // 000000003FE4: E0511100 80050012
	s_add_u32 m0, 0x100, s37                                   // 000000003FEC: 807C25FF 00000100
	v_mfma_f32_16x16x16_bf16 v[32:35], a[198:199], a[54:55], v[32:35]// 000000003FF4: D3E10020 1C826DC6
	v_mfma_f32_16x16x16_bf16 v[32:35], a[200:201], a[56:57], v[32:35]// 000000003FFC: D3E10020 1C8271C8
	buffer_load_dword v19, s[20:23], 0 offen offset:256 lds    // 000000004004: E0511100 80050013
	s_add_u32 m0, 0x180, s36                                   // 00000000400C: 807C24FF 00000180
	v_mfma_f32_16x16x16_bf16 v[32:35], a[202:203], a[58:59], v[32:35]// 000000004014: D3E10020 1C8275CA
	v_mfma_f32_16x16x16_bf16 v[32:35], a[204:205], a[60:61], v[32:35]// 00000000401C: D3E10020 1C8279CC
	buffer_load_dword v18, s[20:23], 0 offen offset:384 lds    // 000000004024: E0511180 80050012
	s_add_u32 m0, 0x180, s37                                   // 00000000402C: 807C25FF 00000180
	v_mfma_f32_16x16x16_bf16 v[32:35], a[206:207], a[62:63], v[32:35]// 000000004034: D3E10020 1C827DCE
	v_mfma_f32_16x16x16_bf16 v[32:35], a[208:209], a[64:65], v[32:35]// 00000000403C: D3E10020 1C8281D0
	buffer_load_dword v19, s[20:23], 0 offen offset:384 lds    // 000000004044: E0511180 80050013
	s_add_u32 m0, 0x200, s36                                   // 00000000404C: 807C24FF 00000200
	v_mfma_f32_16x16x16_bf16 v[32:35], a[210:211], a[66:67], v[32:35]// 000000004054: D3E10020 1C8285D2
	v_mfma_f32_16x16x16_bf16 v[32:35], a[212:213], a[68:69], v[32:35]// 00000000405C: D3E10020 1C8289D4
	buffer_load_dword v18, s[20:23], 0 offen offset:512 lds    // 000000004064: E0511200 80050012
	s_add_u32 m0, 0x200, s37                                   // 00000000406C: 807C25FF 00000200
	v_mfma_f32_16x16x16_bf16 v[32:35], a[214:215], a[70:71], v[32:35]// 000000004074: D3E10020 1C828DD6
	v_add_u32_e32 v8, s73, v8                                  // 00000000407C: 68101049
	s_cmp_le_i32 s83, s82                                      // 000000004080: BF055253
	s_cbranch_scc1 label_0C46                                  // 000000004084: BF850024
	v_mov_b32_e32 v25, 0xff800000                              // 000000004088: 7E3202FF FF800000
	s_add_u32 s57, s82, 0                                      // 000000004090: 80398052
	v_mov_b32_e32 v24, s57                                     // 000000004094: 7E300239
	v_add_u32_e32 v24, s7, v24                                 // 000000004098: 68303007
	s_sub_u32 s56, s83, 15                                     // 00000000409C: 80B88F53
	v_lshrrev_b32_e32 v20, 4, v0                               // 0000000040A0: 20280084
	v_mul_i32_i24_e32 v20, 4, v20                              // 0000000040A4: 0C282884
	v_add_u32_e32 v20, s56, v20                                // 0000000040A8: 68282838
	v_add_u32_e32 v21, 1, v20                                  // 0000000040AC: 682A2881
	v_add_u32_e32 v22, 2, v20                                  // 0000000040B0: 682C2882
	v_add_u32_e32 v23, 3, v20                                  // 0000000040B4: 682E2883
	v_cmp_le_u32_e64 s[38:39], v20, v24                        // 0000000040B8: D0CB0026 00023114
	v_add_u32_e32 v20, 64, v20                                 // 0000000040C0: 682828C0
	s_nop 0                                                    // 0000000040C4: BF800000
	v_cndmask_b32_e64 v32, v25, v32, s[38:39]                  // 0000000040C8: D1000020 009A4119
	v_cmp_le_u32_e64 s[38:39], v21, v24                        // 0000000040D0: D0CB0026 00023115
	v_add_u32_e32 v21, 64, v21                                 // 0000000040D8: 682A2AC0
	s_nop 0                                                    // 0000000040DC: BF800000
	v_cndmask_b32_e64 v33, v25, v33, s[38:39]                  // 0000000040E0: D1000021 009A4319
	v_cmp_le_u32_e64 s[38:39], v22, v24                        // 0000000040E8: D0CB0026 00023116
	v_add_u32_e32 v22, 64, v22                                 // 0000000040F0: 682C2CC0
	s_nop 0                                                    // 0000000040F4: BF800000
	v_cndmask_b32_e64 v34, v25, v34, s[38:39]                  // 0000000040F8: D1000022 009A4519
	v_cmp_le_u32_e64 s[38:39], v23, v24                        // 000000004100: D0CB0026 00023117
	v_add_u32_e32 v23, 64, v23                                 // 000000004108: 682E2EC0
	s_nop 0                                                    // 00000000410C: BF800000
	v_cndmask_b32_e64 v35, v25, v35, s[38:39]                  // 000000004110: D1000023 009A4719

0000000000004118 <label_0C46>:
	s_waitcnt lgkmcnt(0)                                       // 000000004118: BF8CC07F
	s_barrier                                                  // 00000000411C: BF8A0000
	v_max3_f32 v24, v32, v33, v32                              // 000000004120: D1D30018 04824320
	v_max3_f32 v24, v34, v35, v24                              // 000000004128: D1D30018 04624722
	ds_write_b32 v3, v24 offset:53504                          // 000000004130: D81AD100 00001803
	buffer_load_dword v19, s[20:23], 0 offen offset:512 lds    // 000000004138: E0511200 80050013
	s_add_u32 m0, 0x280, s36                                   // 000000004140: 807C24FF 00000280
	buffer_load_dword v18, s[20:23], 0 offen offset:640 lds    // 000000004148: E0511280 80050012
	s_add_u32 m0, 0x280, s37                                   // 000000004150: 807C25FF 00000280
	s_waitcnt lgkmcnt(0)                                       // 000000004158: BF8CC07F
	ds_read_b32 v20, v2 offset:53504                           // 00000000415C: D86CD100 14000002
	ds_read_b32 v21, v2 offset:53568                           // 000000004164: D86CD140 15000002
	ds_read_b32 v22, v2 offset:53632                           // 00000000416C: D86CD180 16000002
	ds_read_b32 v23, v2 offset:53696                           // 000000004174: D86CD1C0 17000002
	buffer_load_dword v19, s[20:23], 0 offen offset:640 lds    // 00000000417C: E0511280 80050013
	s_add_u32 m0, 0x300, s36                                   // 000000004184: 807C24FF 00000300
	buffer_load_dword v18, s[20:23], 0 offen offset:768 lds    // 00000000418C: E0511300 80050012
	s_add_u32 m0, 0x300, s37                                   // 000000004194: 807C25FF 00000300
	buffer_load_dword v19, s[20:23], 0 offen offset:768 lds    // 00000000419C: E0511300 80050013
	s_add_u32 m0, 0x380, s36                                   // 0000000041A4: 807C24FF 00000380
	s_waitcnt lgkmcnt(0)                                       // 0000000041AC: BF8CC07F
	v_max3_f32 v24, v20, v21, v24                              // 0000000041B0: D1D30018 04622B14
	v_max3_f32 v24, v22, v23, v24                              // 0000000041B8: D1D30018 04622F16
	buffer_load_dword v18, s[20:23], 0 offen offset:896 lds    // 0000000041C0: E0511380 80050012
	s_add_u32 m0, 0x380, s37                                   // 0000000041C8: 807C25FF 00000380
	buffer_load_dword v19, s[20:23], 0 offen offset:896 lds    // 0000000041D0: E0511380 80050013
	s_add_u32 m0, 0x400, s36                                   // 0000000041D8: 807C24FF 00000400
	buffer_load_dword v18, s[20:23], 0 offen offset:1024 lds   // 0000000041E0: E0511400 80050012
	s_add_u32 m0, 0x400, s37                                   // 0000000041E8: 807C25FF 00000400
	ds_read_b128 a[144:147], v7 offset:37120                   // 0000000041F0: DBFE9100 90000007
	ds_read_b128 a[148:151], v7 offset:38144                   // 0000000041F8: DBFE9500 94000007
	buffer_load_dword v19, s[20:23], 0 offen offset:1024 lds   // 000000004200: E0511400 80050013
	s_add_u32 m0, 0x480, s36                                   // 000000004208: 807C24FF 00000480
	ds_read_b128 a[152:155], v7 offset:39168                   // 000000004210: DBFE9900 98000007
	ds_read_b128 a[156:159], v7 offset:40192                   // 000000004218: DBFE9D00 9C000007
	ds_read_b128 a[160:163], v7 offset:41216                   // 000000004220: DBFEA100 A0000007
	ds_read_b128 a[164:167], v7 offset:42240                   // 000000004228: DBFEA500 A4000007
	ds_read_b128 a[168:171], v7 offset:43264                   // 000000004230: DBFEA900 A8000007
	ds_read_b128 a[172:175], v7 offset:44288                   // 000000004238: DBFEAD00 AC000007
	v_mov_b32_e32 v25, 0xff7fffff                              // 000000004240: 7E3202FF FF7FFFFF
	v_cmp_eq_u32_e64 s[38:39], v25, v12                        // 000000004248: D0CA0026 00021919
	v_max_f32_e32 v20, v24, v12                                // 000000004250: 16281918
	v_sub_f32_e32 v16, v12, v20                                // 000000004254: 0420290C
	v_cndmask_b32_e64 v16, v16, 0, s[38:39]                    // 000000004258: D1000010 00990110
	v_mov_b32_e32 v12, v20                                     // 000000004260: 7E180314
	v_mul_f32_e32 v21, s5, v20                                 // 000000004264: 0A2A2805
	v_mul_f32_e32 v16, s5, v16                                 // 000000004268: 0A202005
	v_exp_f32_e32 v16, v16                                     // 00000000426C: 7E204110
	v_fma_f32 v32, v32, s5, -v21                               // 000000004270: D1CB0020 84540B20
	v_fma_f32 v33, v33, s5, -v21                               // 000000004278: D1CB0021 84540B21
	v_fma_f32 v34, v34, s5, -v21                               // 000000004280: D1CB0022 84540B22
	v_fma_f32 v35, v35, s5, -v21                               // 000000004288: D1CB0023 84540B23
	v_exp_f32_e32 v32, v32                                     // 000000004290: 7E404120
	v_exp_f32_e32 v33, v33                                     // 000000004294: 7E424121
	v_exp_f32_e32 v34, v34                                     // 000000004298: 7E444122
	v_exp_f32_e32 v35, v35                                     // 00000000429C: 7E464123
	v_mul_f32_e32 v14, v16, v14                                // 0000000042A0: 0A1C1D10
	v_mov_b32_e32 v22, v32                                     // 0000000042A4: 7E2C0320
	v_add_f32_e32 v22, v33, v22                                // 0000000042A8: 022C2D21
	v_add_f32_e32 v22, v34, v22                                // 0000000042AC: 022C2D22
	v_add_f32_e32 v22, v35, v22                                // 0000000042B0: 022C2D23
	v_add_f32_e32 v14, v22, v14                                // 0000000042B4: 021C1D16
	v_mov_b32_e32 v29, 0xffff0000                              // 0000000042B8: 7E3A02FF FFFF0000
	v_mov_b32_e32 v30, 0x7fff0000                              // 0000000042C0: 7E3C02FF 7FFF0000
	v_mov_b32_e32 v31, 0x7fff                                  // 0000000042C8: 7E3E02FF 00007FFF
	v_cmp_u_f32_e64 s[38:39], v32, v32                         // 0000000042D0: D0480026 00024120
	v_add3_u32 v28, v32, v31, 1                                // 0000000042D8: D1FF001C 02063F20
	v_cndmask_b32_e64 v20, v28, v30, s[38:39]                  // 0000000042E0: D1000014 009A3D1C
	v_cmp_u_f32_e64 s[38:39], v33, v33                         // 0000000042E8: D0480026 00024321
	v_add3_u32 v28, v33, v31, 1                                // 0000000042F0: D1FF001C 02063F21
	v_cndmask_b32_e64 v21, v28, v30, s[38:39]                  // 0000000042F8: D1000015 009A3D1C
	v_perm_b32 v32, v21, v20, s52                              // 000000004300: D1ED0020 00D22915
	v_cmp_u_f32_e64 s[38:39], v34, v34                         // 000000004308: D0480026 00024522
	v_add3_u32 v28, v34, v31, 1                                // 000000004310: D1FF001C 02063F22
	v_cndmask_b32_e64 v20, v28, v30, s[38:39]                  // 000000004318: D1000014 009A3D1C
	v_cmp_u_f32_e64 s[38:39], v35, v35                         // 000000004320: D0480026 00024723
	v_add3_u32 v28, v35, v31, 1                                // 000000004328: D1FF001C 02063F23
	v_cndmask_b32_e64 v21, v28, v30, s[38:39]                  // 000000004330: D1000015 009A3D1C
	v_perm_b32 v33, v21, v20, s52                              // 000000004338: D1ED0021 00D22915
	s_nop 2                                                    // 000000004340: BF800002
	s_add_u32 s83, s84, s83                                    // 000000004344: 80535354
	s_nop 0                                                    // 000000004348: BF800000
	v_mul_u32_u24_dpp v18, v10, v9 row_newbcast:0 row_mask:0xf bank_mask:0xf// 00000000434C: 102412FA FF01500A
	v_mul_u32_u24_dpp v19, v10, v9 row_newbcast:8 row_mask:0xf bank_mask:0xf// 000000004354: 102612FA FF01580A
	v_add_u32_e32 v18, v18, v1                                 // 00000000435C: 68240312
	v_add_u32_e32 v19, v19, v1                                 // 000000004360: 68260313
	s_mov_b32 m0, s34                                          // 000000004364: BEFC0022
	v_mov_b32_e32 v22, v16                                     // 000000004368: 7E2C0310
	v_mov_b32_e32 v23, v16                                     // 00000000436C: 7E2E0310
	v_pk_mul_f32 v[40:41], v[22:23], v[40:41]                  // 000000004370: D3B14028 18025116
	v_pk_mul_f32 v[42:43], v[22:23], v[42:43]                  // 000000004378: D3B1402A 18025516
	v_pk_mul_f32 v[44:45], v[22:23], v[44:45]                  // 000000004380: D3B1402C 18025916
	v_pk_mul_f32 v[46:47], v[22:23], v[46:47]                  // 000000004388: D3B1402E 18025D16
	v_pk_mul_f32 v[48:49], v[22:23], v[48:49]                  // 000000004390: D3B14030 18026116
	v_pk_mul_f32 v[50:51], v[22:23], v[50:51]                  // 000000004398: D3B14032 18026516
	v_pk_mul_f32 v[52:53], v[22:23], v[52:53]                  // 0000000043A0: D3B14034 18026916
	v_pk_mul_f32 v[54:55], v[22:23], v[54:55]                  // 0000000043A8: D3B14036 18026D16
	v_pk_mul_f32 v[56:57], v[22:23], v[56:57]                  // 0000000043B0: D3B14038 18027116
	v_pk_mul_f32 v[58:59], v[22:23], v[58:59]                  // 0000000043B8: D3B1403A 18027516
	v_pk_mul_f32 v[60:61], v[22:23], v[60:61]                  // 0000000043C0: D3B1403C 18027916
	v_pk_mul_f32 v[62:63], v[22:23], v[62:63]                  // 0000000043C8: D3B1403E 18027D16
	v_pk_mul_f32 v[64:65], v[22:23], v[64:65]                  // 0000000043D0: D3B14040 18028116
	v_pk_mul_f32 v[66:67], v[22:23], v[66:67]                  // 0000000043D8: D3B14042 18028516
	v_pk_mul_f32 v[68:69], v[22:23], v[68:69]                  // 0000000043E0: D3B14044 18028916
	v_pk_mul_f32 v[70:71], v[22:23], v[70:71]                  // 0000000043E8: D3B14046 18028D16
	v_pk_mul_f32 v[72:73], v[22:23], v[72:73]                  // 0000000043F0: D3B14048 18029116
	v_pk_mul_f32 v[74:75], v[22:23], v[74:75]                  // 0000000043F8: D3B1404A 18029516
	v_pk_mul_f32 v[76:77], v[22:23], v[76:77]                  // 000000004400: D3B1404C 18029916
	v_pk_mul_f32 v[78:79], v[22:23], v[78:79]                  // 000000004408: D3B1404E 18029D16
	v_pk_mul_f32 v[80:81], v[22:23], v[80:81]                  // 000000004410: D3B14050 1802A116
	v_pk_mul_f32 v[82:83], v[22:23], v[82:83]                  // 000000004418: D3B14052 1802A516
	v_pk_mul_f32 v[84:85], v[22:23], v[84:85]                  // 000000004420: D3B14054 1802A916
	v_pk_mul_f32 v[86:87], v[22:23], v[86:87]                  // 000000004428: D3B14056 1802AD16
	v_pk_mul_f32 v[88:89], v[22:23], v[88:89]                  // 000000004430: D3B14058 1802B116
	v_pk_mul_f32 v[90:91], v[22:23], v[90:91]                  // 000000004438: D3B1405A 1802B516
	v_pk_mul_f32 v[92:93], v[22:23], v[92:93]                  // 000000004440: D3B1405C 1802B916
	v_pk_mul_f32 v[94:95], v[22:23], v[94:95]                  // 000000004448: D3B1405E 1802BD16
	v_pk_mul_f32 v[96:97], v[22:23], v[96:97]                  // 000000004450: D3B14060 1802C116
	v_pk_mul_f32 v[98:99], v[22:23], v[98:99]                  // 000000004458: D3B14062 1802C516
	v_pk_mul_f32 v[100:101], v[22:23], v[100:101]              // 000000004460: D3B14064 1802C916
	v_pk_mul_f32 v[102:103], v[22:23], v[102:103]              // 000000004468: D3B14066 1802CD16
	v_pk_mul_f32 v[104:105], v[22:23], v[104:105]              // 000000004470: D3B14068 1802D116
	v_pk_mul_f32 v[106:107], v[22:23], v[106:107]              // 000000004478: D3B1406A 1802D516
	v_pk_mul_f32 v[108:109], v[22:23], v[108:109]              // 000000004480: D3B1406C 1802D916
	v_pk_mul_f32 v[110:111], v[22:23], v[110:111]              // 000000004488: D3B1406E 1802DD16
	v_pk_mul_f32 v[112:113], v[22:23], v[112:113]              // 000000004490: D3B14070 1802E116
	v_pk_mul_f32 v[114:115], v[22:23], v[114:115]              // 000000004498: D3B14072 1802E516
	v_pk_mul_f32 v[116:117], v[22:23], v[116:117]              // 0000000044A0: D3B14074 1802E916
	v_pk_mul_f32 v[118:119], v[22:23], v[118:119]              // 0000000044A8: D3B14076 1802ED16
	v_pk_mul_f32 v[120:121], v[22:23], v[120:121]              // 0000000044B0: D3B14078 1802F116
	v_pk_mul_f32 v[122:123], v[22:23], v[122:123]              // 0000000044B8: D3B1407A 1802F516
	v_pk_mul_f32 v[124:125], v[22:23], v[124:125]              // 0000000044C0: D3B1407C 1802F916
	v_pk_mul_f32 v[126:127], v[22:23], v[126:127]              // 0000000044C8: D3B1407E 1802FD16
	v_pk_mul_f32 v[128:129], v[22:23], v[128:129]              // 0000000044D0: D3B14080 18030116
	v_pk_mul_f32 v[130:131], v[22:23], v[130:131]              // 0000000044D8: D3B14082 18030516
	v_pk_mul_f32 v[132:133], v[22:23], v[132:133]              // 0000000044E0: D3B14084 18030916
	v_pk_mul_f32 v[134:135], v[22:23], v[134:135]              // 0000000044E8: D3B14086 18030D16
	v_pk_mul_f32 v[136:137], v[22:23], v[136:137]              // 0000000044F0: D3B14088 18031116
	v_pk_mul_f32 v[138:139], v[22:23], v[138:139]              // 0000000044F8: D3B1408A 18031516
	v_pk_mul_f32 v[140:141], v[22:23], v[140:141]              // 000000004500: D3B1408C 18031916
	v_pk_mul_f32 v[142:143], v[22:23], v[142:143]              // 000000004508: D3B1408E 18031D16
	v_pk_mul_f32 v[144:145], v[22:23], v[144:145]              // 000000004510: D3B14090 18032116
	v_pk_mul_f32 v[146:147], v[22:23], v[146:147]              // 000000004518: D3B14092 18032516
	v_pk_mul_f32 v[148:149], v[22:23], v[148:149]              // 000000004520: D3B14094 18032916
	v_pk_mul_f32 v[150:151], v[22:23], v[150:151]              // 000000004528: D3B14096 18032D16
	v_pk_mul_f32 v[152:153], v[22:23], v[152:153]              // 000000004530: D3B14098 18033116
	v_pk_mul_f32 v[154:155], v[22:23], v[154:155]              // 000000004538: D3B1409A 18033516
	v_pk_mul_f32 v[156:157], v[22:23], v[156:157]              // 000000004540: D3B1409C 18033916
	v_pk_mul_f32 v[158:159], v[22:23], v[158:159]              // 000000004548: D3B1409E 18033D16
	v_pk_mul_f32 v[160:161], v[22:23], v[160:161]              // 000000004550: D3B140A0 18034116
	v_pk_mul_f32 v[162:163], v[22:23], v[162:163]              // 000000004558: D3B140A2 18034516
	v_pk_mul_f32 v[164:165], v[22:23], v[164:165]              // 000000004560: D3B140A4 18034916
	v_pk_mul_f32 v[166:167], v[22:23], v[166:167]              // 000000004568: D3B140A6 18034D16
	s_waitcnt lgkmcnt(0)                                       // 000000004570: BF8CC07F
	v_mfma_f32_16x16x16_bf16 v[40:43], a[144:145], v[32:33], v[40:43]// 000000004574: D3E10028 0CA24190
	v_mfma_f32_16x16x16_bf16 v[44:47], a[146:147], v[32:33], v[44:47]// 00000000457C: D3E1002C 0CB24192
	ds_read_b128 a[176:179], v7 offset:45312                   // 000000004584: DBFEB100 B0000007
	ds_read_b128 a[180:183], v7 offset:46336                   // 00000000458C: DBFEB500 B4000007
	v_mfma_f32_16x16x16_bf16 v[48:51], a[148:149], v[32:33], v[48:51]// 000000004594: D3E10030 0CC24194
	v_mfma_f32_16x16x16_bf16 v[52:55], a[150:151], v[32:33], v[52:55]// 00000000459C: D3E10034 0CD24196
	v_mfma_f32_16x16x16_bf16 v[56:59], a[152:153], v[32:33], v[56:59]// 0000000045A4: D3E10038 0CE24198
	v_mfma_f32_16x16x16_bf16 v[60:63], a[154:155], v[32:33], v[60:63]// 0000000045AC: D3E1003C 0CF2419A
	ds_read_b128 a[184:187], v7 offset:47360                   // 0000000045B4: DBFEB900 B8000007
	ds_read_b128 a[188:191], v7 offset:48384                   // 0000000045BC: DBFEBD00 BC000007
	v_mfma_f32_16x16x16_bf16 v[64:67], a[156:157], v[32:33], v[64:67]// 0000000045C4: D3E10040 0D02419C
	v_mfma_f32_16x16x16_bf16 v[68:71], a[158:159], v[32:33], v[68:71]// 0000000045CC: D3E10044 0D12419E
	v_mfma_f32_16x16x16_bf16 v[72:75], a[160:161], v[32:33], v[72:75]// 0000000045D4: D3E10048 0D2241A0
	v_mfma_f32_16x16x16_bf16 v[76:79], a[162:163], v[32:33], v[76:79]// 0000000045DC: D3E1004C 0D3241A2
	ds_read_b128 a[192:195], v7 offset:49408                   // 0000000045E4: DBFEC100 C0000007
	ds_read_b128 a[196:199], v7 offset:50432                   // 0000000045EC: DBFEC500 C4000007
	v_mfma_f32_16x16x16_bf16 v[80:83], a[164:165], v[32:33], v[80:83]// 0000000045F4: D3E10050 0D4241A4
	v_mfma_f32_16x16x16_bf16 v[84:87], a[166:167], v[32:33], v[84:87]// 0000000045FC: D3E10054 0D5241A6
	v_mfma_f32_16x16x16_bf16 v[88:91], a[168:169], v[32:33], v[88:91]// 000000004604: D3E10058 0D6241A8
	v_mfma_f32_16x16x16_bf16 v[92:95], a[170:171], v[32:33], v[92:95]// 00000000460C: D3E1005C 0D7241AA
	ds_read_b128 a[200:203], v7 offset:51456                   // 000000004614: DBFEC900 C8000007
	ds_read_b128 a[204:207], v7 offset:52480                   // 00000000461C: DBFECD00 CC000007
	v_mfma_f32_16x16x16_bf16 v[96:99], a[172:173], v[32:33], v[96:99]// 000000004624: D3E10060 0D8241AC
	v_mfma_f32_16x16x16_bf16 v[100:103], a[174:175], v[32:33], v[100:103]// 00000000462C: D3E10064 0D9241AE
	s_waitcnt lgkmcnt(4)                                       // 000000004634: BF8CC47F
	v_mfma_f32_16x16x16_bf16 v[104:107], a[176:177], v[32:33], v[104:107]// 000000004638: D3E10068 0DA241B0
	v_mfma_f32_16x16x16_bf16 v[108:111], a[178:179], v[32:33], v[108:111]// 000000004640: D3E1006C 0DB241B2
	v_mfma_f32_16x16x16_bf16 v[112:115], a[180:181], v[32:33], v[112:115]// 000000004648: D3E10070 0DC241B4
	s_waitcnt vmcnt(18) lgkmcnt(0)                             // 000000004650: BF8C4072
	s_barrier                                                  // 000000004654: BF8A0000
	v_mfma_f32_16x16x16_bf16 v[116:119], a[182:183], v[32:33], v[116:119]// 000000004658: D3E10074 0DD241B6
	ds_read_b64 v[20:21], v5                                   // 000000004660: D8EC0000 14000005
	ds_read_b64 v[22:23], v5 offset:4640                       // 000000004668: D8EC1220 16000005
	v_mfma_f32_16x16x16_bf16 v[120:123], a[184:185], v[32:33], v[120:123]// 000000004670: D3E10078 0DE241B8
	ds_read_b64 v[24:25], v5 offset:9280                       // 000000004678: D8EC2440 18000005
	ds_read_b64 v[26:27], v5 offset:13920                      // 000000004680: D8EC3660 1A000005
	v_mfma_f32_16x16x16_bf16 v[124:127], a[186:187], v[32:33], v[124:127]// 000000004688: D3E1007C 0DF241BA
	ds_read_b128 a[144:147], v4                                // 000000004690: DBFE0000 90000004
	v_mfma_f32_16x16x16_bf16 v[128:131], a[188:189], v[32:33], v[128:131]// 000000004698: D3E10080 0E0241BC
	ds_read_b128 a[148:151], v4 offset:64                      // 0000000046A0: DBFE0040 94000004
	v_mfma_f32_16x16x16_bf16 v[132:135], a[190:191], v[32:33], v[132:135]// 0000000046A8: D3E10084 0E1241BE
	ds_read_b128 a[152:155], v4 offset:256                     // 0000000046B0: DBFE0100 98000004
	v_mfma_f32_16x16x16_bf16 v[136:139], a[192:193], v[32:33], v[136:139]// 0000000046B8: D3E10088 0E2241C0
	ds_read_b128 a[156:159], v4 offset:320                     // 0000000046C0: DBFE0140 9C000004
	v_mfma_f32_16x16x16_bf16 v[140:143], a[194:195], v[32:33], v[140:143]// 0000000046C8: D3E1008C 0E3241C2
	ds_read_b128 a[160:163], v4 offset:512                     // 0000000046D0: DBFE0200 A0000004
	v_mfma_f32_16x16x16_bf16 v[144:147], a[196:197], v[32:33], v[144:147]// 0000000046D8: D3E10090 0E4241C4
	ds_read_b128 a[164:167], v4 offset:576                     // 0000000046E0: DBFE0240 A4000004
	v_mfma_f32_16x16x16_bf16 v[148:151], a[198:199], v[32:33], v[148:151]// 0000000046E8: D3E10094 0E5241C6
	ds_read_b128 a[168:171], v4 offset:768                     // 0000000046F0: DBFE0300 A8000004
	v_mfma_f32_16x16x16_bf16 v[152:155], a[200:201], v[32:33], v[152:155]// 0000000046F8: D3E10098 0E6241C8
	ds_read_b128 a[172:175], v4 offset:832                     // 000000004700: DBFE0340 AC000004
	v_mfma_f32_16x16x16_bf16 v[156:159], a[202:203], v[32:33], v[156:159]// 000000004708: D3E1009C 0E7241CA
	s_waitcnt lgkmcnt(8)                                       // 000000004710: BF8CC87F
	v_perm_b32 v168, v22, v20, s53                             // 000000004714: D1ED00A8 00D62916
	v_perm_b32 v170, v22, v20, s52                             // 00000000471C: D1ED00AA 00D22916
	v_perm_b32 v169, v26, v24, s53                             // 000000004724: D1ED00A9 00D6311A
	v_perm_b32 v171, v26, v24, s52                             // 00000000472C: D1ED00AB 00D2311A
	v_mfma_f32_16x16x16_bf16 v[160:163], a[204:205], v[32:33], v[160:163]// 000000004734: D3E100A0 0E8241CC
	ds_write_b128 v6, v[168:171] offset:37120                  // 00000000473C: D9BE9100 0000A806
	v_perm_b32 v168, v23, v21, s53                             // 000000004744: D1ED00A8 00D62B17
	v_perm_b32 v170, v23, v21, s52                             // 00000000474C: D1ED00AA 00D22B17
	v_perm_b32 v169, v27, v25, s53                             // 000000004754: D1ED00A9 00D6331B
	v_perm_b32 v171, v27, v25, s52                             // 00000000475C: D1ED00AB 00D2331B
	v_mfma_f32_16x16x16_bf16 v[164:167], a[206:207], v[32:33], v[164:167]// 000000004764: D3E100A4 0E9241CE
	ds_write_b128 v6, v[168:171] offset:38144                  // 00000000476C: D9BE9500 0000A806
	ds_read_b64 v[20:21], v5 offset:1024                       // 000000004774: D8EC0400 14000005
	ds_read_b64 v[22:23], v5 offset:5664                       // 00000000477C: D8EC1620 16000005
	ds_read_b64 v[24:25], v5 offset:10304                      // 000000004784: D8EC2840 18000005
	ds_read_b64 v[26:27], v5 offset:14944                      // 00000000478C: D8EC3A60 1A000005
	s_nop 0                                                    // 000000004794: BF800000
	s_addk_i32 s70, 0x1                                        // 000000004798: B7460001
	s_cmp_lt_i32 s70, s71                                      // 00000000479C: BF044746
	s_cbranch_scc0 label_091E                                  // 0000000047A0: BF84FB35
	s_branch label_0921                                        // 0000000047A4: BF82FB37

00000000000047a8 <label_0DEA>:
	s_cmp_eq_i32 s48, 0                                        // 0000000047A8: BF008030
	s_cbranch_scc1 label_11EB                                  // 0000000047AC: BF8503FF

00000000000047b0 <label_0DEC>:
	s_and_b32 s56, s71, 1                                      // 0000000047B0: 86388147
	s_cmp_eq_i32 s56, 1                                        // 0000000047B4: BF008138
	s_cbranch_scc1 label_0FED                                  // 0000000047B8: BF8501FE
	s_waitcnt lgkmcnt(4)                                       // 0000000047BC: BF8CC47F
	v_mfma_f32_16x16x16_bf16 v[32:35], a[144:145], a[0:1], 0   // 0000000047C0: D3E10020 1A020190
	ds_read_b128 a[176:179], v4 offset:1024                    // 0000000047C8: DBFE0400 B0000004
	ds_read_b128 a[180:183], v4 offset:1088                    // 0000000047D0: DBFE0440 B4000004
	v_mfma_f32_16x16x16_bf16 v[32:35], a[146:147], a[2:3], v[32:35]// 0000000047D8: D3E10020 1C820592
	v_mfma_f32_16x16x16_bf16 v[32:35], a[148:149], a[4:5], v[32:35]// 0000000047E0: D3E10020 1C820994
	v_mfma_f32_16x16x16_bf16 v[32:35], a[150:151], a[6:7], v[32:35]// 0000000047E8: D3E10020 1C820D96
	v_mfma_f32_16x16x16_bf16 v[32:35], a[152:153], a[8:9], v[32:35]// 0000000047F0: D3E10020 1C821198
	ds_read_b128 a[184:187], v4 offset:1280                    // 0000000047F8: DBFE0500 B8000004
	ds_read_b128 a[188:191], v4 offset:1344                    // 000000004800: DBFE0540 BC000004
	v_mfma_f32_16x16x16_bf16 v[32:35], a[154:155], a[10:11], v[32:35]// 000000004808: D3E10020 1C82159A
	v_mfma_f32_16x16x16_bf16 v[32:35], a[156:157], a[12:13], v[32:35]// 000000004810: D3E10020 1C82199C
	v_mfma_f32_16x16x16_bf16 v[32:35], a[158:159], a[14:15], v[32:35]// 000000004818: D3E10020 1C821D9E
	s_waitcnt lgkmcnt(4)                                       // 000000004820: BF8CC47F
	v_mfma_f32_16x16x16_bf16 v[32:35], a[160:161], a[16:17], v[32:35]// 000000004824: D3E10020 1C8221A0
	ds_read_b128 a[192:195], v4 offset:1536                    // 00000000482C: DBFE0600 C0000004
	ds_read_b128 a[196:199], v4 offset:1600                    // 000000004834: DBFE0640 C4000004
	v_mfma_f32_16x16x16_bf16 v[32:35], a[162:163], a[18:19], v[32:35]// 00000000483C: D3E10020 1C8225A2
	v_mfma_f32_16x16x16_bf16 v[32:35], a[164:165], a[20:21], v[32:35]// 000000004844: D3E10020 1C8229A4
	v_mfma_f32_16x16x16_bf16 v[32:35], a[166:167], a[22:23], v[32:35]// 00000000484C: D3E10020 1C822DA6
	v_mfma_f32_16x16x16_bf16 v[32:35], a[168:169], a[24:25], v[32:35]// 000000004854: D3E10020 1C8231A8
	ds_read_b128 a[200:203], v4 offset:1792                    // 00000000485C: DBFE0700 C8000004
	ds_read_b128 a[204:207], v4 offset:1856                    // 000000004864: DBFE0740 CC000004
	v_mfma_f32_16x16x16_bf16 v[32:35], a[170:171], a[26:27], v[32:35]// 00000000486C: D3E10020 1C8235AA
	v_mfma_f32_16x16x16_bf16 v[32:35], a[172:173], a[28:29], v[32:35]// 000000004874: D3E10020 1C8239AC
	v_mfma_f32_16x16x16_bf16 v[32:35], a[174:175], a[30:31], v[32:35]// 00000000487C: D3E10020 1C823DAE
	s_waitcnt lgkmcnt(4)                                       // 000000004884: BF8CC47F
	s_barrier                                                  // 000000004888: BF8A0000
	v_mfma_f32_16x16x16_bf16 v[32:35], a[176:177], a[32:33], v[32:35]// 00000000488C: D3E10020 1C8241B0
	ds_read_b128 a[208:211], v4 offset:2048                    // 000000004894: DBFE0800 D0000004
	ds_read_b128 a[212:215], v4 offset:2112                    // 00000000489C: DBFE0840 D4000004
	v_mfma_f32_16x16x16_bf16 v[32:35], a[178:179], a[34:35], v[32:35]// 0000000048A4: D3E10020 1C8245B2
	v_mfma_f32_16x16x16_bf16 v[32:35], a[180:181], a[36:37], v[32:35]// 0000000048AC: D3E10020 1C8249B4
	v_perm_b32 v168, v22, v20, s53                             // 0000000048B4: D1ED00A8 00D62916
	v_perm_b32 v170, v22, v20, s52                             // 0000000048BC: D1ED00AA 00D22916
	v_perm_b32 v169, v26, v24, s53                             // 0000000048C4: D1ED00A9 00D6311A
	v_perm_b32 v171, v26, v24, s52                             // 0000000048CC: D1ED00AB 00D2311A
	v_mfma_f32_16x16x16_bf16 v[32:35], a[182:183], a[38:39], v[32:35]// 0000000048D4: D3E10020 1C824DB6
	v_mfma_f32_16x16x16_bf16 v[32:35], a[184:185], a[40:41], v[32:35]// 0000000048DC: D3E10020 1C8251B8
	ds_write_b128 v6, v[168:171] offset:45312                  // 0000000048E4: D9BEB100 0000A806
	v_mfma_f32_16x16x16_bf16 v[32:35], a[186:187], a[42:43], v[32:35]// 0000000048EC: D3E10020 1C8255BA
	v_mfma_f32_16x16x16_bf16 v[32:35], a[188:189], a[44:45], v[32:35]// 0000000048F4: D3E10020 1C8259BC
	v_perm_b32 v168, v23, v21, s53                             // 0000000048FC: D1ED00A8 00D62B17
	v_perm_b32 v170, v23, v21, s52                             // 000000004904: D1ED00AA 00D22B17
	v_perm_b32 v169, v27, v25, s53                             // 00000000490C: D1ED00A9 00D6331B
	v_perm_b32 v171, v27, v25, s52                             // 000000004914: D1ED00AB 00D2331B
	v_mfma_f32_16x16x16_bf16 v[32:35], a[190:191], a[46:47], v[32:35]// 00000000491C: D3E10020 1C825DBE
	s_waitcnt lgkmcnt(1)                                       // 000000004924: BF8CC17F
	v_mfma_f32_16x16x16_bf16 v[32:35], a[192:193], a[48:49], v[32:35]// 000000004928: D3E10020 1C8261C0
	ds_write_b128 v6, v[168:171] offset:46336                  // 000000004930: D9BEB500 0000A806
	v_mfma_f32_16x16x16_bf16 v[32:35], a[194:195], a[50:51], v[32:35]// 000000004938: D3E10020 1C8265C2
	v_mfma_f32_16x16x16_bf16 v[32:35], a[196:197], a[52:53], v[32:35]// 000000004940: D3E10020 1C8269C4
	v_mfma_f32_16x16x16_bf16 v[32:35], a[198:199], a[54:55], v[32:35]// 000000004948: D3E10020 1C826DC6
	v_mfma_f32_16x16x16_bf16 v[32:35], a[200:201], a[56:57], v[32:35]// 000000004950: D3E10020 1C8271C8
	v_mfma_f32_16x16x16_bf16 v[32:35], a[202:203], a[58:59], v[32:35]// 000000004958: D3E10020 1C8275CA
	v_mfma_f32_16x16x16_bf16 v[32:35], a[204:205], a[60:61], v[32:35]// 000000004960: D3E10020 1C8279CC
	v_mfma_f32_16x16x16_bf16 v[32:35], a[206:207], a[62:63], v[32:35]// 000000004968: D3E10020 1C827DCE
	v_mfma_f32_16x16x16_bf16 v[32:35], a[208:209], a[64:65], v[32:35]// 000000004970: D3E10020 1C8281D0
	v_mfma_f32_16x16x16_bf16 v[32:35], a[210:211], a[66:67], v[32:35]// 000000004978: D3E10020 1C8285D2
	v_mfma_f32_16x16x16_bf16 v[32:35], a[212:213], a[68:69], v[32:35]// 000000004980: D3E10020 1C8289D4
	v_mfma_f32_16x16x16_bf16 v[32:35], a[214:215], a[70:71], v[32:35]// 000000004988: D3E10020 1C828DD6
	s_cmp_le_i32 s83, s82                                      // 000000004990: BF055253
	s_cbranch_scc1 label_0E8A                                  // 000000004994: BF850024
	v_mov_b32_e32 v25, 0xff800000                              // 000000004998: 7E3202FF FF800000
	s_add_u32 s57, s82, 0                                      // 0000000049A0: 80398052
	v_mov_b32_e32 v24, s57                                     // 0000000049A4: 7E300239
	v_add_u32_e32 v24, s7, v24                                 // 0000000049A8: 68303007
	s_sub_u32 s56, s83, 15                                     // 0000000049AC: 80B88F53
	v_lshrrev_b32_e32 v20, 4, v0                               // 0000000049B0: 20280084
	v_mul_i32_i24_e32 v20, 4, v20                              // 0000000049B4: 0C282884
	v_add_u32_e32 v20, s56, v20                                // 0000000049B8: 68282838
	v_add_u32_e32 v21, 1, v20                                  // 0000000049BC: 682A2881
	v_add_u32_e32 v22, 2, v20                                  // 0000000049C0: 682C2882
	v_add_u32_e32 v23, 3, v20                                  // 0000000049C4: 682E2883
	v_cmp_le_u32_e64 s[38:39], v20, v24                        // 0000000049C8: D0CB0026 00023114
	v_add_u32_e32 v20, 64, v20                                 // 0000000049D0: 682828C0
	s_nop 0                                                    // 0000000049D4: BF800000
	v_cndmask_b32_e64 v32, v25, v32, s[38:39]                  // 0000000049D8: D1000020 009A4119
	v_cmp_le_u32_e64 s[38:39], v21, v24                        // 0000000049E0: D0CB0026 00023115
	v_add_u32_e32 v21, 64, v21                                 // 0000000049E8: 682A2AC0
	s_nop 0                                                    // 0000000049EC: BF800000
	v_cndmask_b32_e64 v33, v25, v33, s[38:39]                  // 0000000049F0: D1000021 009A4319
	v_cmp_le_u32_e64 s[38:39], v22, v24                        // 0000000049F8: D0CB0026 00023116
	v_add_u32_e32 v22, 64, v22                                 // 000000004A00: 682C2CC0
	s_nop 0                                                    // 000000004A04: BF800000
	v_cndmask_b32_e64 v34, v25, v34, s[38:39]                  // 000000004A08: D1000022 009A4519
	v_cmp_le_u32_e64 s[38:39], v23, v24                        // 000000004A10: D0CB0026 00023117
	v_add_u32_e32 v23, 64, v23                                 // 000000004A18: 682E2EC0
	s_nop 0                                                    // 000000004A1C: BF800000
	v_cndmask_b32_e64 v35, v25, v35, s[38:39]                  // 000000004A20: D1000023 009A4719

0000000000004a28 <label_0E8A>:
	s_waitcnt lgkmcnt(0)                                       // 000000004A28: BF8CC07F
	s_barrier                                                  // 000000004A2C: BF8A0000
	v_mov_b32_e32 v25, 0xff800000                              // 000000004A30: 7E3202FF FF800000
	s_and_b32 s56, s48, 0xff                                   // 000000004A38: 8638FF30 000000FF
	v_mov_b32_e32 v24, s56                                     // 000000004A40: 7E300238
	v_lshrrev_b32_e32 v20, 4, v0                               // 000000004A44: 20280084
	v_mul_i32_i24_e32 v20, 4, v20                              // 000000004A48: 0C282884
	v_add_u32_e32 v21, 1, v20                                  // 000000004A4C: 682A2881
	v_add_u32_e32 v22, 2, v20                                  // 000000004A50: 682C2882
	v_add_u32_e32 v23, 3, v20                                  // 000000004A54: 682E2883
	v_cmp_lt_u32_e64 s[38:39], v20, v24                        // 000000004A58: D0C90026 00023114
	v_add_u32_e32 v20, 64, v20                                 // 000000004A60: 682828C0
	s_nop 0                                                    // 000000004A64: BF800000
	v_cndmask_b32_e64 v32, v25, v32, s[38:39]                  // 000000004A68: D1000020 009A4119
	v_cmp_lt_u32_e64 s[38:39], v21, v24                        // 000000004A70: D0C90026 00023115
	v_add_u32_e32 v21, 64, v21                                 // 000000004A78: 682A2AC0
	s_nop 0                                                    // 000000004A7C: BF800000
	v_cndmask_b32_e64 v33, v25, v33, s[38:39]                  // 000000004A80: D1000021 009A4319
	v_cmp_lt_u32_e64 s[38:39], v22, v24                        // 000000004A88: D0C90026 00023116
	v_add_u32_e32 v22, 64, v22                                 // 000000004A90: 682C2CC0
	s_nop 0                                                    // 000000004A94: BF800000
	v_cndmask_b32_e64 v34, v25, v34, s[38:39]                  // 000000004A98: D1000022 009A4519
	v_cmp_lt_u32_e64 s[38:39], v23, v24                        // 000000004AA0: D0C90026 00023117
	v_add_u32_e32 v23, 64, v23                                 // 000000004AA8: 682E2EC0
	s_nop 0                                                    // 000000004AAC: BF800000
	v_cndmask_b32_e64 v35, v25, v35, s[38:39]                  // 000000004AB0: D1000023 009A4719
	v_max3_f32 v24, v32, v33, v32                              // 000000004AB8: D1D30018 04824320
	v_max3_f32 v24, v34, v35, v24                              // 000000004AC0: D1D30018 04624722
	ds_write_b32 v3, v24 offset:53504                          // 000000004AC8: D81AD100 00001803
	s_waitcnt lgkmcnt(0)                                       // 000000004AD0: BF8CC07F
	ds_read_b32 v20, v2 offset:53504                           // 000000004AD4: D86CD100 14000002
	ds_read_b32 v21, v2 offset:53568                           // 000000004ADC: D86CD140 15000002
	ds_read_b32 v22, v2 offset:53632                           // 000000004AE4: D86CD180 16000002
	ds_read_b32 v23, v2 offset:53696                           // 000000004AEC: D86CD1C0 17000002
	s_waitcnt lgkmcnt(0)                                       // 000000004AF4: BF8CC07F
	v_max3_f32 v24, v20, v21, v24                              // 000000004AF8: D1D30018 04622B14
	v_max3_f32 v24, v22, v23, v24                              // 000000004B00: D1D30018 04622F16
	ds_read_b128 a[144:147], v7 offset:37120                   // 000000004B08: DBFE9100 90000007
	ds_read_b128 a[148:151], v7 offset:38144                   // 000000004B10: DBFE9500 94000007
	ds_read_b128 a[152:155], v7 offset:39168                   // 000000004B18: DBFE9900 98000007
	ds_read_b128 a[156:159], v7 offset:40192                   // 000000004B20: DBFE9D00 9C000007
	ds_read_b128 a[160:163], v7 offset:41216                   // 000000004B28: DBFEA100 A0000007
	ds_read_b128 a[164:167], v7 offset:42240                   // 000000004B30: DBFEA500 A4000007
	ds_read_b128 a[168:171], v7 offset:43264                   // 000000004B38: DBFEA900 A8000007
	ds_read_b128 a[172:175], v7 offset:44288                   // 000000004B40: DBFEAD00 AC000007
	v_mov_b32_e32 v25, 0xff7fffff                              // 000000004B48: 7E3202FF FF7FFFFF
	v_cmp_eq_u32_e64 s[38:39], v25, v12                        // 000000004B50: D0CA0026 00021919
	v_max_f32_e32 v20, v24, v12                                // 000000004B58: 16281918
	v_sub_f32_e32 v16, v12, v20                                // 000000004B5C: 0420290C
	v_cndmask_b32_e64 v16, v16, 0, s[38:39]                    // 000000004B60: D1000010 00990110
	v_mov_b32_e32 v12, v20                                     // 000000004B68: 7E180314
	v_mul_f32_e32 v21, s5, v20                                 // 000000004B6C: 0A2A2805
	v_mul_f32_e32 v16, s5, v16                                 // 000000004B70: 0A202005
	v_exp_f32_e32 v16, v16                                     // 000000004B74: 7E204110
	v_fma_f32 v32, v32, s5, -v21                               // 000000004B78: D1CB0020 84540B20
	v_fma_f32 v33, v33, s5, -v21                               // 000000004B80: D1CB0021 84540B21
	v_fma_f32 v34, v34, s5, -v21                               // 000000004B88: D1CB0022 84540B22
	v_fma_f32 v35, v35, s5, -v21                               // 000000004B90: D1CB0023 84540B23
	v_exp_f32_e32 v32, v32                                     // 000000004B98: 7E404120
	v_exp_f32_e32 v33, v33                                     // 000000004B9C: 7E424121
	v_exp_f32_e32 v34, v34                                     // 000000004BA0: 7E444122
	v_exp_f32_e32 v35, v35                                     // 000000004BA4: 7E464123
	v_mul_f32_e32 v14, v16, v14                                // 000000004BA8: 0A1C1D10
	v_mov_b32_e32 v22, v32                                     // 000000004BAC: 7E2C0320
	v_add_f32_e32 v22, v33, v22                                // 000000004BB0: 022C2D21
	v_add_f32_e32 v22, v34, v22                                // 000000004BB4: 022C2D22
	v_add_f32_e32 v22, v35, v22                                // 000000004BB8: 022C2D23
	v_add_f32_e32 v14, v22, v14                                // 000000004BBC: 021C1D16
	v_mov_b32_e32 v29, 0xffff0000                              // 000000004BC0: 7E3A02FF FFFF0000
	v_mov_b32_e32 v30, 0x7fff0000                              // 000000004BC8: 7E3C02FF 7FFF0000
	v_mov_b32_e32 v31, 0x7fff                                  // 000000004BD0: 7E3E02FF 00007FFF
	v_cmp_u_f32_e64 s[38:39], v32, v32                         // 000000004BD8: D0480026 00024120
	v_add3_u32 v28, v32, v31, 1                                // 000000004BE0: D1FF001C 02063F20
	v_cndmask_b32_e64 v20, v28, v30, s[38:39]                  // 000000004BE8: D1000014 009A3D1C
	v_cmp_u_f32_e64 s[38:39], v33, v33                         // 000000004BF0: D0480026 00024321
	v_add3_u32 v28, v33, v31, 1                                // 000000004BF8: D1FF001C 02063F21
	v_cndmask_b32_e64 v21, v28, v30, s[38:39]                  // 000000004C00: D1000015 009A3D1C
	v_perm_b32 v32, v21, v20, s52                              // 000000004C08: D1ED0020 00D22915
	v_cmp_u_f32_e64 s[38:39], v34, v34                         // 000000004C10: D0480026 00024522
	v_add3_u32 v28, v34, v31, 1                                // 000000004C18: D1FF001C 02063F22
	v_cndmask_b32_e64 v20, v28, v30, s[38:39]                  // 000000004C20: D1000014 009A3D1C
	v_cmp_u_f32_e64 s[38:39], v35, v35                         // 000000004C28: D0480026 00024723
	v_add3_u32 v28, v35, v31, 1                                // 000000004C30: D1FF001C 02063F23
	v_cndmask_b32_e64 v21, v28, v30, s[38:39]                  // 000000004C38: D1000015 009A3D1C
	v_perm_b32 v33, v21, v20, s52                              // 000000004C40: D1ED0021 00D22915
	s_nop 2                                                    // 000000004C48: BF800002
	s_add_u32 s83, s84, s83                                    // 000000004C4C: 80535354
	s_nop 0                                                    // 000000004C50: BF800000
	v_mov_b32_e32 v22, v16                                     // 000000004C54: 7E2C0310
	v_mov_b32_e32 v23, v16                                     // 000000004C58: 7E2E0310
	v_pk_mul_f32 v[40:41], v[22:23], v[40:41]                  // 000000004C5C: D3B14028 18025116
	v_pk_mul_f32 v[42:43], v[22:23], v[42:43]                  // 000000004C64: D3B1402A 18025516
	v_pk_mul_f32 v[44:45], v[22:23], v[44:45]                  // 000000004C6C: D3B1402C 18025916
	v_pk_mul_f32 v[46:47], v[22:23], v[46:47]                  // 000000004C74: D3B1402E 18025D16
	v_pk_mul_f32 v[48:49], v[22:23], v[48:49]                  // 000000004C7C: D3B14030 18026116
	v_pk_mul_f32 v[50:51], v[22:23], v[50:51]                  // 000000004C84: D3B14032 18026516
	v_pk_mul_f32 v[52:53], v[22:23], v[52:53]                  // 000000004C8C: D3B14034 18026916
	v_pk_mul_f32 v[54:55], v[22:23], v[54:55]                  // 000000004C94: D3B14036 18026D16
	v_pk_mul_f32 v[56:57], v[22:23], v[56:57]                  // 000000004C9C: D3B14038 18027116
	v_pk_mul_f32 v[58:59], v[22:23], v[58:59]                  // 000000004CA4: D3B1403A 18027516
	v_pk_mul_f32 v[60:61], v[22:23], v[60:61]                  // 000000004CAC: D3B1403C 18027916
	v_pk_mul_f32 v[62:63], v[22:23], v[62:63]                  // 000000004CB4: D3B1403E 18027D16
	v_pk_mul_f32 v[64:65], v[22:23], v[64:65]                  // 000000004CBC: D3B14040 18028116
	v_pk_mul_f32 v[66:67], v[22:23], v[66:67]                  // 000000004CC4: D3B14042 18028516
	v_pk_mul_f32 v[68:69], v[22:23], v[68:69]                  // 000000004CCC: D3B14044 18028916
	v_pk_mul_f32 v[70:71], v[22:23], v[70:71]                  // 000000004CD4: D3B14046 18028D16
	v_pk_mul_f32 v[72:73], v[22:23], v[72:73]                  // 000000004CDC: D3B14048 18029116
	v_pk_mul_f32 v[74:75], v[22:23], v[74:75]                  // 000000004CE4: D3B1404A 18029516
	v_pk_mul_f32 v[76:77], v[22:23], v[76:77]                  // 000000004CEC: D3B1404C 18029916
	v_pk_mul_f32 v[78:79], v[22:23], v[78:79]                  // 000000004CF4: D3B1404E 18029D16
	v_pk_mul_f32 v[80:81], v[22:23], v[80:81]                  // 000000004CFC: D3B14050 1802A116
	v_pk_mul_f32 v[82:83], v[22:23], v[82:83]                  // 000000004D04: D3B14052 1802A516
	v_pk_mul_f32 v[84:85], v[22:23], v[84:85]                  // 000000004D0C: D3B14054 1802A916
	v_pk_mul_f32 v[86:87], v[22:23], v[86:87]                  // 000000004D14: D3B14056 1802AD16
	v_pk_mul_f32 v[88:89], v[22:23], v[88:89]                  // 000000004D1C: D3B14058 1802B116
	v_pk_mul_f32 v[90:91], v[22:23], v[90:91]                  // 000000004D24: D3B1405A 1802B516
	v_pk_mul_f32 v[92:93], v[22:23], v[92:93]                  // 000000004D2C: D3B1405C 1802B916
	v_pk_mul_f32 v[94:95], v[22:23], v[94:95]                  // 000000004D34: D3B1405E 1802BD16
	v_pk_mul_f32 v[96:97], v[22:23], v[96:97]                  // 000000004D3C: D3B14060 1802C116
	v_pk_mul_f32 v[98:99], v[22:23], v[98:99]                  // 000000004D44: D3B14062 1802C516
	v_pk_mul_f32 v[100:101], v[22:23], v[100:101]              // 000000004D4C: D3B14064 1802C916
	v_pk_mul_f32 v[102:103], v[22:23], v[102:103]              // 000000004D54: D3B14066 1802CD16
	v_pk_mul_f32 v[104:105], v[22:23], v[104:105]              // 000000004D5C: D3B14068 1802D116
	v_pk_mul_f32 v[106:107], v[22:23], v[106:107]              // 000000004D64: D3B1406A 1802D516
	v_pk_mul_f32 v[108:109], v[22:23], v[108:109]              // 000000004D6C: D3B1406C 1802D916
	v_pk_mul_f32 v[110:111], v[22:23], v[110:111]              // 000000004D74: D3B1406E 1802DD16
	v_pk_mul_f32 v[112:113], v[22:23], v[112:113]              // 000000004D7C: D3B14070 1802E116
	v_pk_mul_f32 v[114:115], v[22:23], v[114:115]              // 000000004D84: D3B14072 1802E516
	v_pk_mul_f32 v[116:117], v[22:23], v[116:117]              // 000000004D8C: D3B14074 1802E916
	v_pk_mul_f32 v[118:119], v[22:23], v[118:119]              // 000000004D94: D3B14076 1802ED16
	v_pk_mul_f32 v[120:121], v[22:23], v[120:121]              // 000000004D9C: D3B14078 1802F116
	v_pk_mul_f32 v[122:123], v[22:23], v[122:123]              // 000000004DA4: D3B1407A 1802F516
	v_pk_mul_f32 v[124:125], v[22:23], v[124:125]              // 000000004DAC: D3B1407C 1802F916
	v_pk_mul_f32 v[126:127], v[22:23], v[126:127]              // 000000004DB4: D3B1407E 1802FD16
	v_pk_mul_f32 v[128:129], v[22:23], v[128:129]              // 000000004DBC: D3B14080 18030116
	v_pk_mul_f32 v[130:131], v[22:23], v[130:131]              // 000000004DC4: D3B14082 18030516
	v_pk_mul_f32 v[132:133], v[22:23], v[132:133]              // 000000004DCC: D3B14084 18030916
	v_pk_mul_f32 v[134:135], v[22:23], v[134:135]              // 000000004DD4: D3B14086 18030D16
	v_pk_mul_f32 v[136:137], v[22:23], v[136:137]              // 000000004DDC: D3B14088 18031116
	v_pk_mul_f32 v[138:139], v[22:23], v[138:139]              // 000000004DE4: D3B1408A 18031516
	v_pk_mul_f32 v[140:141], v[22:23], v[140:141]              // 000000004DEC: D3B1408C 18031916
	v_pk_mul_f32 v[142:143], v[22:23], v[142:143]              // 000000004DF4: D3B1408E 18031D16
	v_pk_mul_f32 v[144:145], v[22:23], v[144:145]              // 000000004DFC: D3B14090 18032116
	v_pk_mul_f32 v[146:147], v[22:23], v[146:147]              // 000000004E04: D3B14092 18032516
	v_pk_mul_f32 v[148:149], v[22:23], v[148:149]              // 000000004E0C: D3B14094 18032916
	v_pk_mul_f32 v[150:151], v[22:23], v[150:151]              // 000000004E14: D3B14096 18032D16
	v_pk_mul_f32 v[152:153], v[22:23], v[152:153]              // 000000004E1C: D3B14098 18033116
	v_pk_mul_f32 v[154:155], v[22:23], v[154:155]              // 000000004E24: D3B1409A 18033516
	v_pk_mul_f32 v[156:157], v[22:23], v[156:157]              // 000000004E2C: D3B1409C 18033916
	v_pk_mul_f32 v[158:159], v[22:23], v[158:159]              // 000000004E34: D3B1409E 18033D16
	v_pk_mul_f32 v[160:161], v[22:23], v[160:161]              // 000000004E3C: D3B140A0 18034116
	v_pk_mul_f32 v[162:163], v[22:23], v[162:163]              // 000000004E44: D3B140A2 18034516
	v_pk_mul_f32 v[164:165], v[22:23], v[164:165]              // 000000004E4C: D3B140A4 18034916
	v_pk_mul_f32 v[166:167], v[22:23], v[166:167]              // 000000004E54: D3B140A6 18034D16
	s_waitcnt lgkmcnt(0)                                       // 000000004E5C: BF8CC07F
	v_mfma_f32_16x16x16_bf16 v[40:43], a[144:145], v[32:33], v[40:43]// 000000004E60: D3E10028 0CA24190
	ds_read_b128 a[176:179], v7 offset:45312                   // 000000004E68: DBFEB100 B0000007
	ds_read_b128 a[180:183], v7 offset:46336                   // 000000004E70: DBFEB500 B4000007
	v_mfma_f32_16x16x16_bf16 v[44:47], a[146:147], v[32:33], v[44:47]// 000000004E78: D3E1002C 0CB24192
	v_mfma_f32_16x16x16_bf16 v[48:51], a[148:149], v[32:33], v[48:51]// 000000004E80: D3E10030 0CC24194
	v_mfma_f32_16x16x16_bf16 v[52:55], a[150:151], v[32:33], v[52:55]// 000000004E88: D3E10034 0CD24196
	v_mfma_f32_16x16x16_bf16 v[56:59], a[152:153], v[32:33], v[56:59]// 000000004E90: D3E10038 0CE24198
	ds_read_b128 a[184:187], v7 offset:47360                   // 000000004E98: DBFEB900 B8000007
	ds_read_b128 a[188:191], v7 offset:48384                   // 000000004EA0: DBFEBD00 BC000007
	v_mfma_f32_16x16x16_bf16 v[60:63], a[154:155], v[32:33], v[60:63]// 000000004EA8: D3E1003C 0CF2419A
	v_mfma_f32_16x16x16_bf16 v[64:67], a[156:157], v[32:33], v[64:67]// 000000004EB0: D3E10040 0D02419C
	v_mfma_f32_16x16x16_bf16 v[68:71], a[158:159], v[32:33], v[68:71]// 000000004EB8: D3E10044 0D12419E
	v_mfma_f32_16x16x16_bf16 v[72:75], a[160:161], v[32:33], v[72:75]// 000000004EC0: D3E10048 0D2241A0
	ds_read_b128 a[192:195], v7 offset:49408                   // 000000004EC8: DBFEC100 C0000007
	ds_read_b128 a[196:199], v7 offset:50432                   // 000000004ED0: DBFEC500 C4000007
	v_mfma_f32_16x16x16_bf16 v[76:79], a[162:163], v[32:33], v[76:79]// 000000004ED8: D3E1004C 0D3241A2
	v_mfma_f32_16x16x16_bf16 v[80:83], a[164:165], v[32:33], v[80:83]// 000000004EE0: D3E10050 0D4241A4
	v_mfma_f32_16x16x16_bf16 v[84:87], a[166:167], v[32:33], v[84:87]// 000000004EE8: D3E10054 0D5241A6
	v_mfma_f32_16x16x16_bf16 v[88:91], a[168:169], v[32:33], v[88:91]// 000000004EF0: D3E10058 0D6241A8
	ds_read_b128 a[200:203], v7 offset:51456                   // 000000004EF8: DBFEC900 C8000007
	ds_read_b128 a[204:207], v7 offset:52480                   // 000000004F00: DBFECD00 CC000007
	v_mfma_f32_16x16x16_bf16 v[92:95], a[170:171], v[32:33], v[92:95]// 000000004F08: D3E1005C 0D7241AA
	v_mfma_f32_16x16x16_bf16 v[96:99], a[172:173], v[32:33], v[96:99]// 000000004F10: D3E10060 0D8241AC
	v_mfma_f32_16x16x16_bf16 v[100:103], a[174:175], v[32:33], v[100:103]// 000000004F18: D3E10064 0D9241AE
	s_waitcnt lgkmcnt(4)                                       // 000000004F20: BF8CC47F
	v_mfma_f32_16x16x16_bf16 v[104:107], a[176:177], v[32:33], v[104:107]// 000000004F24: D3E10068 0DA241B0
	v_mfma_f32_16x16x16_bf16 v[108:111], a[178:179], v[32:33], v[108:111]// 000000004F2C: D3E1006C 0DB241B2
	v_mfma_f32_16x16x16_bf16 v[112:115], a[180:181], v[32:33], v[112:115]// 000000004F34: D3E10070 0DC241B4
	s_waitcnt vmcnt(18) lgkmcnt(0)                             // 000000004F3C: BF8C4072
	s_barrier                                                  // 000000004F40: BF8A0000
	v_mfma_f32_16x16x16_bf16 v[116:119], a[182:183], v[32:33], v[116:119]// 000000004F44: D3E10074 0DD241B6
	v_mfma_f32_16x16x16_bf16 v[120:123], a[184:185], v[32:33], v[120:123]// 000000004F4C: D3E10078 0DE241B8
	v_mfma_f32_16x16x16_bf16 v[124:127], a[186:187], v[32:33], v[124:127]// 000000004F54: D3E1007C 0DF241BA
	v_mfma_f32_16x16x16_bf16 v[128:131], a[188:189], v[32:33], v[128:131]// 000000004F5C: D3E10080 0E0241BC
	v_mfma_f32_16x16x16_bf16 v[132:135], a[190:191], v[32:33], v[132:135]// 000000004F64: D3E10084 0E1241BE
	v_mfma_f32_16x16x16_bf16 v[136:139], a[192:193], v[32:33], v[136:139]// 000000004F6C: D3E10088 0E2241C0
	v_mfma_f32_16x16x16_bf16 v[140:143], a[194:195], v[32:33], v[140:143]// 000000004F74: D3E1008C 0E3241C2
	v_mfma_f32_16x16x16_bf16 v[144:147], a[196:197], v[32:33], v[144:147]// 000000004F7C: D3E10090 0E4241C4
	v_mfma_f32_16x16x16_bf16 v[148:151], a[198:199], v[32:33], v[148:151]// 000000004F84: D3E10094 0E5241C6
	v_mfma_f32_16x16x16_bf16 v[152:155], a[200:201], v[32:33], v[152:155]// 000000004F8C: D3E10098 0E6241C8
	v_mfma_f32_16x16x16_bf16 v[156:159], a[202:203], v[32:33], v[156:159]// 000000004F94: D3E1009C 0E7241CA
	v_mfma_f32_16x16x16_bf16 v[160:163], a[204:205], v[32:33], v[160:163]// 000000004F9C: D3E100A0 0E8241CC
	v_mfma_f32_16x16x16_bf16 v[164:167], a[206:207], v[32:33], v[164:167]// 000000004FA4: D3E100A4 0E9241CE
	s_nop 8                                                    // 000000004FAC: BF800008
	s_branch label_11EB                                        // 000000004FB0: BF8201FE

0000000000004fb4 <label_0FED>:
	s_waitcnt lgkmcnt(4)                                       // 000000004FB4: BF8CC47F
	v_mfma_f32_16x16x16_bf16 v[32:35], a[144:145], a[0:1], 0   // 000000004FB8: D3E10020 1A020190
	ds_read_b128 a[176:179], v4 offset:19584                   // 000000004FC0: DBFE4C80 B0000004
	ds_read_b128 a[180:183], v4 offset:19648                   // 000000004FC8: DBFE4CC0 B4000004
	v_mfma_f32_16x16x16_bf16 v[32:35], a[146:147], a[2:3], v[32:35]// 000000004FD0: D3E10020 1C820592
	v_mfma_f32_16x16x16_bf16 v[32:35], a[148:149], a[4:5], v[32:35]// 000000004FD8: D3E10020 1C820994
	v_mfma_f32_16x16x16_bf16 v[32:35], a[150:151], a[6:7], v[32:35]// 000000004FE0: D3E10020 1C820D96
	v_mfma_f32_16x16x16_bf16 v[32:35], a[152:153], a[8:9], v[32:35]// 000000004FE8: D3E10020 1C821198
	ds_read_b128 a[184:187], v4 offset:19840                   // 000000004FF0: DBFE4D80 B8000004
	ds_read_b128 a[188:191], v4 offset:19904                   // 000000004FF8: DBFE4DC0 BC000004
	v_mfma_f32_16x16x16_bf16 v[32:35], a[154:155], a[10:11], v[32:35]// 000000005000: D3E10020 1C82159A
	v_mfma_f32_16x16x16_bf16 v[32:35], a[156:157], a[12:13], v[32:35]// 000000005008: D3E10020 1C82199C
	v_mfma_f32_16x16x16_bf16 v[32:35], a[158:159], a[14:15], v[32:35]// 000000005010: D3E10020 1C821D9E
	s_waitcnt lgkmcnt(4)                                       // 000000005018: BF8CC47F
	v_mfma_f32_16x16x16_bf16 v[32:35], a[160:161], a[16:17], v[32:35]// 00000000501C: D3E10020 1C8221A0
	ds_read_b128 a[192:195], v4 offset:20096                   // 000000005024: DBFE4E80 C0000004
	ds_read_b128 a[196:199], v4 offset:20160                   // 00000000502C: DBFE4EC0 C4000004
	v_mfma_f32_16x16x16_bf16 v[32:35], a[162:163], a[18:19], v[32:35]// 000000005034: D3E10020 1C8225A2
	v_mfma_f32_16x16x16_bf16 v[32:35], a[164:165], a[20:21], v[32:35]// 00000000503C: D3E10020 1C8229A4
	v_mfma_f32_16x16x16_bf16 v[32:35], a[166:167], a[22:23], v[32:35]// 000000005044: D3E10020 1C822DA6
	v_mfma_f32_16x16x16_bf16 v[32:35], a[168:169], a[24:25], v[32:35]// 00000000504C: D3E10020 1C8231A8
	ds_read_b128 a[200:203], v4 offset:20352                   // 000000005054: DBFE4F80 C8000004
	ds_read_b128 a[204:207], v4 offset:20416                   // 00000000505C: DBFE4FC0 CC000004
	v_mfma_f32_16x16x16_bf16 v[32:35], a[170:171], a[26:27], v[32:35]// 000000005064: D3E10020 1C8235AA
	v_mfma_f32_16x16x16_bf16 v[32:35], a[172:173], a[28:29], v[32:35]// 00000000506C: D3E10020 1C8239AC
	v_mfma_f32_16x16x16_bf16 v[32:35], a[174:175], a[30:31], v[32:35]// 000000005074: D3E10020 1C823DAE
	s_waitcnt lgkmcnt(4)                                       // 00000000507C: BF8CC47F
	s_barrier                                                  // 000000005080: BF8A0000
	v_mfma_f32_16x16x16_bf16 v[32:35], a[176:177], a[32:33], v[32:35]// 000000005084: D3E10020 1C8241B0
	ds_read_b128 a[208:211], v4 offset:20608                   // 00000000508C: DBFE5080 D0000004
	ds_read_b128 a[212:215], v4 offset:20672                   // 000000005094: DBFE50C0 D4000004
	v_mfma_f32_16x16x16_bf16 v[32:35], a[178:179], a[34:35], v[32:35]// 00000000509C: D3E10020 1C8245B2
	v_mfma_f32_16x16x16_bf16 v[32:35], a[180:181], a[36:37], v[32:35]// 0000000050A4: D3E10020 1C8249B4
	v_perm_b32 v168, v22, v20, s53                             // 0000000050AC: D1ED00A8 00D62916
	v_perm_b32 v170, v22, v20, s52                             // 0000000050B4: D1ED00AA 00D22916
	v_perm_b32 v169, v26, v24, s53                             // 0000000050BC: D1ED00A9 00D6311A
	v_perm_b32 v171, v26, v24, s52                             // 0000000050C4: D1ED00AB 00D2311A
	v_mfma_f32_16x16x16_bf16 v[32:35], a[182:183], a[38:39], v[32:35]// 0000000050CC: D3E10020 1C824DB6
	v_mfma_f32_16x16x16_bf16 v[32:35], a[184:185], a[40:41], v[32:35]// 0000000050D4: D3E10020 1C8251B8
	ds_write_b128 v6, v[168:171] offset:45312                  // 0000000050DC: D9BEB100 0000A806
	v_mfma_f32_16x16x16_bf16 v[32:35], a[186:187], a[42:43], v[32:35]// 0000000050E4: D3E10020 1C8255BA
	v_mfma_f32_16x16x16_bf16 v[32:35], a[188:189], a[44:45], v[32:35]// 0000000050EC: D3E10020 1C8259BC
	v_perm_b32 v168, v23, v21, s53                             // 0000000050F4: D1ED00A8 00D62B17
	v_perm_b32 v170, v23, v21, s52                             // 0000000050FC: D1ED00AA 00D22B17
	v_perm_b32 v169, v27, v25, s53                             // 000000005104: D1ED00A9 00D6331B
	v_perm_b32 v171, v27, v25, s52                             // 00000000510C: D1ED00AB 00D2331B
	v_mfma_f32_16x16x16_bf16 v[32:35], a[190:191], a[46:47], v[32:35]// 000000005114: D3E10020 1C825DBE
	s_waitcnt lgkmcnt(1)                                       // 00000000511C: BF8CC17F
	v_mfma_f32_16x16x16_bf16 v[32:35], a[192:193], a[48:49], v[32:35]// 000000005120: D3E10020 1C8261C0
	ds_write_b128 v6, v[168:171] offset:46336                  // 000000005128: D9BEB500 0000A806
	v_mfma_f32_16x16x16_bf16 v[32:35], a[194:195], a[50:51], v[32:35]// 000000005130: D3E10020 1C8265C2
	v_mfma_f32_16x16x16_bf16 v[32:35], a[196:197], a[52:53], v[32:35]// 000000005138: D3E10020 1C8269C4
	v_mfma_f32_16x16x16_bf16 v[32:35], a[198:199], a[54:55], v[32:35]// 000000005140: D3E10020 1C826DC6
	v_mfma_f32_16x16x16_bf16 v[32:35], a[200:201], a[56:57], v[32:35]// 000000005148: D3E10020 1C8271C8
	v_mfma_f32_16x16x16_bf16 v[32:35], a[202:203], a[58:59], v[32:35]// 000000005150: D3E10020 1C8275CA
	v_mfma_f32_16x16x16_bf16 v[32:35], a[204:205], a[60:61], v[32:35]// 000000005158: D3E10020 1C8279CC
	v_mfma_f32_16x16x16_bf16 v[32:35], a[206:207], a[62:63], v[32:35]// 000000005160: D3E10020 1C827DCE
	v_mfma_f32_16x16x16_bf16 v[32:35], a[208:209], a[64:65], v[32:35]// 000000005168: D3E10020 1C8281D0
	v_mfma_f32_16x16x16_bf16 v[32:35], a[210:211], a[66:67], v[32:35]// 000000005170: D3E10020 1C8285D2
	v_mfma_f32_16x16x16_bf16 v[32:35], a[212:213], a[68:69], v[32:35]// 000000005178: D3E10020 1C8289D4
	v_mfma_f32_16x16x16_bf16 v[32:35], a[214:215], a[70:71], v[32:35]// 000000005180: D3E10020 1C828DD6
	s_cmp_le_i32 s83, s82                                      // 000000005188: BF055253
	s_cbranch_scc1 label_1088                                  // 00000000518C: BF850024
	v_mov_b32_e32 v25, 0xff800000                              // 000000005190: 7E3202FF FF800000
	s_add_u32 s57, s82, 0                                      // 000000005198: 80398052
	v_mov_b32_e32 v24, s57                                     // 00000000519C: 7E300239
	v_add_u32_e32 v24, s7, v24                                 // 0000000051A0: 68303007
	s_sub_u32 s56, s83, 15                                     // 0000000051A4: 80B88F53
	v_lshrrev_b32_e32 v20, 4, v0                               // 0000000051A8: 20280084
	v_mul_i32_i24_e32 v20, 4, v20                              // 0000000051AC: 0C282884
	v_add_u32_e32 v20, s56, v20                                // 0000000051B0: 68282838
	v_add_u32_e32 v21, 1, v20                                  // 0000000051B4: 682A2881
	v_add_u32_e32 v22, 2, v20                                  // 0000000051B8: 682C2882
	v_add_u32_e32 v23, 3, v20                                  // 0000000051BC: 682E2883
	v_cmp_le_u32_e64 s[38:39], v20, v24                        // 0000000051C0: D0CB0026 00023114
	v_add_u32_e32 v20, 64, v20                                 // 0000000051C8: 682828C0
	s_nop 0                                                    // 0000000051CC: BF800000
	v_cndmask_b32_e64 v32, v25, v32, s[38:39]                  // 0000000051D0: D1000020 009A4119
	v_cmp_le_u32_e64 s[38:39], v21, v24                        // 0000000051D8: D0CB0026 00023115
	v_add_u32_e32 v21, 64, v21                                 // 0000000051E0: 682A2AC0
	s_nop 0                                                    // 0000000051E4: BF800000
	v_cndmask_b32_e64 v33, v25, v33, s[38:39]                  // 0000000051E8: D1000021 009A4319
	v_cmp_le_u32_e64 s[38:39], v22, v24                        // 0000000051F0: D0CB0026 00023116
	v_add_u32_e32 v22, 64, v22                                 // 0000000051F8: 682C2CC0
	s_nop 0                                                    // 0000000051FC: BF800000
	v_cndmask_b32_e64 v34, v25, v34, s[38:39]                  // 000000005200: D1000022 009A4519
	v_cmp_le_u32_e64 s[38:39], v23, v24                        // 000000005208: D0CB0026 00023117
	v_add_u32_e32 v23, 64, v23                                 // 000000005210: 682E2EC0
	s_nop 0                                                    // 000000005214: BF800000
	v_cndmask_b32_e64 v35, v25, v35, s[38:39]                  // 000000005218: D1000023 009A4719

0000000000005220 <label_1088>:
	s_waitcnt lgkmcnt(0)                                       // 000000005220: BF8CC07F
	s_barrier                                                  // 000000005224: BF8A0000
	v_mov_b32_e32 v25, 0xff800000                              // 000000005228: 7E3202FF FF800000
	s_and_b32 s56, s48, 0xff                                   // 000000005230: 8638FF30 000000FF
	v_mov_b32_e32 v24, s56                                     // 000000005238: 7E300238
	v_lshrrev_b32_e32 v20, 4, v0                               // 00000000523C: 20280084
	v_mul_i32_i24_e32 v20, 4, v20                              // 000000005240: 0C282884
	v_add_u32_e32 v21, 1, v20                                  // 000000005244: 682A2881
	v_add_u32_e32 v22, 2, v20                                  // 000000005248: 682C2882
	v_add_u32_e32 v23, 3, v20                                  // 00000000524C: 682E2883
	v_cmp_lt_u32_e64 s[38:39], v20, v24                        // 000000005250: D0C90026 00023114
	v_add_u32_e32 v20, 64, v20                                 // 000000005258: 682828C0
	s_nop 0                                                    // 00000000525C: BF800000
	v_cndmask_b32_e64 v32, v25, v32, s[38:39]                  // 000000005260: D1000020 009A4119
	v_cmp_lt_u32_e64 s[38:39], v21, v24                        // 000000005268: D0C90026 00023115
	v_add_u32_e32 v21, 64, v21                                 // 000000005270: 682A2AC0
	s_nop 0                                                    // 000000005274: BF800000
	v_cndmask_b32_e64 v33, v25, v33, s[38:39]                  // 000000005278: D1000021 009A4319
	v_cmp_lt_u32_e64 s[38:39], v22, v24                        // 000000005280: D0C90026 00023116
	v_add_u32_e32 v22, 64, v22                                 // 000000005288: 682C2CC0
	s_nop 0                                                    // 00000000528C: BF800000
	v_cndmask_b32_e64 v34, v25, v34, s[38:39]                  // 000000005290: D1000022 009A4519
	v_cmp_lt_u32_e64 s[38:39], v23, v24                        // 000000005298: D0C90026 00023117
	v_add_u32_e32 v23, 64, v23                                 // 0000000052A0: 682E2EC0
	s_nop 0                                                    // 0000000052A4: BF800000
	v_cndmask_b32_e64 v35, v25, v35, s[38:39]                  // 0000000052A8: D1000023 009A4719
	v_max3_f32 v24, v32, v33, v32                              // 0000000052B0: D1D30018 04824320
	v_max3_f32 v24, v34, v35, v24                              // 0000000052B8: D1D30018 04624722
	ds_write_b32 v3, v24 offset:53504                          // 0000000052C0: D81AD100 00001803
	s_waitcnt lgkmcnt(0)                                       // 0000000052C8: BF8CC07F
	ds_read_b32 v20, v2 offset:53504                           // 0000000052CC: D86CD100 14000002
	ds_read_b32 v21, v2 offset:53568                           // 0000000052D4: D86CD140 15000002
	ds_read_b32 v22, v2 offset:53632                           // 0000000052DC: D86CD180 16000002
	ds_read_b32 v23, v2 offset:53696                           // 0000000052E4: D86CD1C0 17000002
	s_waitcnt lgkmcnt(0)                                       // 0000000052EC: BF8CC07F
	v_max3_f32 v24, v20, v21, v24                              // 0000000052F0: D1D30018 04622B14
	v_max3_f32 v24, v22, v23, v24                              // 0000000052F8: D1D30018 04622F16
	ds_read_b128 a[144:147], v7 offset:37120                   // 000000005300: DBFE9100 90000007
	ds_read_b128 a[148:151], v7 offset:38144                   // 000000005308: DBFE9500 94000007
	ds_read_b128 a[152:155], v7 offset:39168                   // 000000005310: DBFE9900 98000007
	ds_read_b128 a[156:159], v7 offset:40192                   // 000000005318: DBFE9D00 9C000007
	ds_read_b128 a[160:163], v7 offset:41216                   // 000000005320: DBFEA100 A0000007
	ds_read_b128 a[164:167], v7 offset:42240                   // 000000005328: DBFEA500 A4000007
	ds_read_b128 a[168:171], v7 offset:43264                   // 000000005330: DBFEA900 A8000007
	ds_read_b128 a[172:175], v7 offset:44288                   // 000000005338: DBFEAD00 AC000007
	v_mov_b32_e32 v25, 0xff7fffff                              // 000000005340: 7E3202FF FF7FFFFF
	v_cmp_eq_u32_e64 s[38:39], v25, v12                        // 000000005348: D0CA0026 00021919
	v_max_f32_e32 v20, v24, v12                                // 000000005350: 16281918
	v_sub_f32_e32 v16, v12, v20                                // 000000005354: 0420290C
	v_cndmask_b32_e64 v16, v16, 0, s[38:39]                    // 000000005358: D1000010 00990110
	v_mov_b32_e32 v12, v20                                     // 000000005360: 7E180314
	v_mul_f32_e32 v21, s5, v20                                 // 000000005364: 0A2A2805
	v_mul_f32_e32 v16, s5, v16                                 // 000000005368: 0A202005
	v_exp_f32_e32 v16, v16                                     // 00000000536C: 7E204110
	v_fma_f32 v32, v32, s5, -v21                               // 000000005370: D1CB0020 84540B20
	v_fma_f32 v33, v33, s5, -v21                               // 000000005378: D1CB0021 84540B21
	v_fma_f32 v34, v34, s5, -v21                               // 000000005380: D1CB0022 84540B22
	v_fma_f32 v35, v35, s5, -v21                               // 000000005388: D1CB0023 84540B23
	v_exp_f32_e32 v32, v32                                     // 000000005390: 7E404120
	v_exp_f32_e32 v33, v33                                     // 000000005394: 7E424121
	v_exp_f32_e32 v34, v34                                     // 000000005398: 7E444122
	v_exp_f32_e32 v35, v35                                     // 00000000539C: 7E464123
	v_mul_f32_e32 v14, v16, v14                                // 0000000053A0: 0A1C1D10
	v_mov_b32_e32 v22, v32                                     // 0000000053A4: 7E2C0320
	v_add_f32_e32 v22, v33, v22                                // 0000000053A8: 022C2D21
	v_add_f32_e32 v22, v34, v22                                // 0000000053AC: 022C2D22
	v_add_f32_e32 v22, v35, v22                                // 0000000053B0: 022C2D23
	v_add_f32_e32 v14, v22, v14                                // 0000000053B4: 021C1D16
	v_mov_b32_e32 v29, 0xffff0000                              // 0000000053B8: 7E3A02FF FFFF0000
	v_mov_b32_e32 v30, 0x7fff0000                              // 0000000053C0: 7E3C02FF 7FFF0000
	v_mov_b32_e32 v31, 0x7fff                                  // 0000000053C8: 7E3E02FF 00007FFF
	v_cmp_u_f32_e64 s[38:39], v32, v32                         // 0000000053D0: D0480026 00024120
	v_add3_u32 v28, v32, v31, 1                                // 0000000053D8: D1FF001C 02063F20
	v_cndmask_b32_e64 v20, v28, v30, s[38:39]                  // 0000000053E0: D1000014 009A3D1C
	v_cmp_u_f32_e64 s[38:39], v33, v33                         // 0000000053E8: D0480026 00024321
	v_add3_u32 v28, v33, v31, 1                                // 0000000053F0: D1FF001C 02063F21
	v_cndmask_b32_e64 v21, v28, v30, s[38:39]                  // 0000000053F8: D1000015 009A3D1C
	v_perm_b32 v32, v21, v20, s52                              // 000000005400: D1ED0020 00D22915
	v_cmp_u_f32_e64 s[38:39], v34, v34                         // 000000005408: D0480026 00024522
	v_add3_u32 v28, v34, v31, 1                                // 000000005410: D1FF001C 02063F22
	v_cndmask_b32_e64 v20, v28, v30, s[38:39]                  // 000000005418: D1000014 009A3D1C
	v_cmp_u_f32_e64 s[38:39], v35, v35                         // 000000005420: D0480026 00024723
	v_add3_u32 v28, v35, v31, 1                                // 000000005428: D1FF001C 02063F23
	v_cndmask_b32_e64 v21, v28, v30, s[38:39]                  // 000000005430: D1000015 009A3D1C
	v_perm_b32 v33, v21, v20, s52                              // 000000005438: D1ED0021 00D22915
	s_nop 2                                                    // 000000005440: BF800002
	s_add_u32 s83, s84, s83                                    // 000000005444: 80535354
	s_nop 0                                                    // 000000005448: BF800000
	v_mov_b32_e32 v22, v16                                     // 00000000544C: 7E2C0310
	v_mov_b32_e32 v23, v16                                     // 000000005450: 7E2E0310
	v_pk_mul_f32 v[40:41], v[22:23], v[40:41]                  // 000000005454: D3B14028 18025116
	v_pk_mul_f32 v[42:43], v[22:23], v[42:43]                  // 00000000545C: D3B1402A 18025516
	v_pk_mul_f32 v[44:45], v[22:23], v[44:45]                  // 000000005464: D3B1402C 18025916
	v_pk_mul_f32 v[46:47], v[22:23], v[46:47]                  // 00000000546C: D3B1402E 18025D16
	v_pk_mul_f32 v[48:49], v[22:23], v[48:49]                  // 000000005474: D3B14030 18026116
	v_pk_mul_f32 v[50:51], v[22:23], v[50:51]                  // 00000000547C: D3B14032 18026516
	v_pk_mul_f32 v[52:53], v[22:23], v[52:53]                  // 000000005484: D3B14034 18026916
	v_pk_mul_f32 v[54:55], v[22:23], v[54:55]                  // 00000000548C: D3B14036 18026D16
	v_pk_mul_f32 v[56:57], v[22:23], v[56:57]                  // 000000005494: D3B14038 18027116
	v_pk_mul_f32 v[58:59], v[22:23], v[58:59]                  // 00000000549C: D3B1403A 18027516
	v_pk_mul_f32 v[60:61], v[22:23], v[60:61]                  // 0000000054A4: D3B1403C 18027916
	v_pk_mul_f32 v[62:63], v[22:23], v[62:63]                  // 0000000054AC: D3B1403E 18027D16
	v_pk_mul_f32 v[64:65], v[22:23], v[64:65]                  // 0000000054B4: D3B14040 18028116
	v_pk_mul_f32 v[66:67], v[22:23], v[66:67]                  // 0000000054BC: D3B14042 18028516
	v_pk_mul_f32 v[68:69], v[22:23], v[68:69]                  // 0000000054C4: D3B14044 18028916
	v_pk_mul_f32 v[70:71], v[22:23], v[70:71]                  // 0000000054CC: D3B14046 18028D16
	v_pk_mul_f32 v[72:73], v[22:23], v[72:73]                  // 0000000054D4: D3B14048 18029116
	v_pk_mul_f32 v[74:75], v[22:23], v[74:75]                  // 0000000054DC: D3B1404A 18029516
	v_pk_mul_f32 v[76:77], v[22:23], v[76:77]                  // 0000000054E4: D3B1404C 18029916
	v_pk_mul_f32 v[78:79], v[22:23], v[78:79]                  // 0000000054EC: D3B1404E 18029D16
	v_pk_mul_f32 v[80:81], v[22:23], v[80:81]                  // 0000000054F4: D3B14050 1802A116
	v_pk_mul_f32 v[82:83], v[22:23], v[82:83]                  // 0000000054FC: D3B14052 1802A516
	v_pk_mul_f32 v[84:85], v[22:23], v[84:85]                  // 000000005504: D3B14054 1802A916
	v_pk_mul_f32 v[86:87], v[22:23], v[86:87]                  // 00000000550C: D3B14056 1802AD16
	v_pk_mul_f32 v[88:89], v[22:23], v[88:89]                  // 000000005514: D3B14058 1802B116
	v_pk_mul_f32 v[90:91], v[22:23], v[90:91]                  // 00000000551C: D3B1405A 1802B516
	v_pk_mul_f32 v[92:93], v[22:23], v[92:93]                  // 000000005524: D3B1405C 1802B916
	v_pk_mul_f32 v[94:95], v[22:23], v[94:95]                  // 00000000552C: D3B1405E 1802BD16
	v_pk_mul_f32 v[96:97], v[22:23], v[96:97]                  // 000000005534: D3B14060 1802C116
	v_pk_mul_f32 v[98:99], v[22:23], v[98:99]                  // 00000000553C: D3B14062 1802C516
	v_pk_mul_f32 v[100:101], v[22:23], v[100:101]              // 000000005544: D3B14064 1802C916
	v_pk_mul_f32 v[102:103], v[22:23], v[102:103]              // 00000000554C: D3B14066 1802CD16
	v_pk_mul_f32 v[104:105], v[22:23], v[104:105]              // 000000005554: D3B14068 1802D116
	v_pk_mul_f32 v[106:107], v[22:23], v[106:107]              // 00000000555C: D3B1406A 1802D516
	v_pk_mul_f32 v[108:109], v[22:23], v[108:109]              // 000000005564: D3B1406C 1802D916
	v_pk_mul_f32 v[110:111], v[22:23], v[110:111]              // 00000000556C: D3B1406E 1802DD16
	v_pk_mul_f32 v[112:113], v[22:23], v[112:113]              // 000000005574: D3B14070 1802E116
	v_pk_mul_f32 v[114:115], v[22:23], v[114:115]              // 00000000557C: D3B14072 1802E516
	v_pk_mul_f32 v[116:117], v[22:23], v[116:117]              // 000000005584: D3B14074 1802E916
	v_pk_mul_f32 v[118:119], v[22:23], v[118:119]              // 00000000558C: D3B14076 1802ED16
	v_pk_mul_f32 v[120:121], v[22:23], v[120:121]              // 000000005594: D3B14078 1802F116
	v_pk_mul_f32 v[122:123], v[22:23], v[122:123]              // 00000000559C: D3B1407A 1802F516
	v_pk_mul_f32 v[124:125], v[22:23], v[124:125]              // 0000000055A4: D3B1407C 1802F916
	v_pk_mul_f32 v[126:127], v[22:23], v[126:127]              // 0000000055AC: D3B1407E 1802FD16
	v_pk_mul_f32 v[128:129], v[22:23], v[128:129]              // 0000000055B4: D3B14080 18030116
	v_pk_mul_f32 v[130:131], v[22:23], v[130:131]              // 0000000055BC: D3B14082 18030516
	v_pk_mul_f32 v[132:133], v[22:23], v[132:133]              // 0000000055C4: D3B14084 18030916
	v_pk_mul_f32 v[134:135], v[22:23], v[134:135]              // 0000000055CC: D3B14086 18030D16
	v_pk_mul_f32 v[136:137], v[22:23], v[136:137]              // 0000000055D4: D3B14088 18031116
	v_pk_mul_f32 v[138:139], v[22:23], v[138:139]              // 0000000055DC: D3B1408A 18031516
	v_pk_mul_f32 v[140:141], v[22:23], v[140:141]              // 0000000055E4: D3B1408C 18031916
	v_pk_mul_f32 v[142:143], v[22:23], v[142:143]              // 0000000055EC: D3B1408E 18031D16
	v_pk_mul_f32 v[144:145], v[22:23], v[144:145]              // 0000000055F4: D3B14090 18032116
	v_pk_mul_f32 v[146:147], v[22:23], v[146:147]              // 0000000055FC: D3B14092 18032516
	v_pk_mul_f32 v[148:149], v[22:23], v[148:149]              // 000000005604: D3B14094 18032916
	v_pk_mul_f32 v[150:151], v[22:23], v[150:151]              // 00000000560C: D3B14096 18032D16
	v_pk_mul_f32 v[152:153], v[22:23], v[152:153]              // 000000005614: D3B14098 18033116
	v_pk_mul_f32 v[154:155], v[22:23], v[154:155]              // 00000000561C: D3B1409A 18033516
	v_pk_mul_f32 v[156:157], v[22:23], v[156:157]              // 000000005624: D3B1409C 18033916
	v_pk_mul_f32 v[158:159], v[22:23], v[158:159]              // 00000000562C: D3B1409E 18033D16
	v_pk_mul_f32 v[160:161], v[22:23], v[160:161]              // 000000005634: D3B140A0 18034116
	v_pk_mul_f32 v[162:163], v[22:23], v[162:163]              // 00000000563C: D3B140A2 18034516
	v_pk_mul_f32 v[164:165], v[22:23], v[164:165]              // 000000005644: D3B140A4 18034916
	v_pk_mul_f32 v[166:167], v[22:23], v[166:167]              // 00000000564C: D3B140A6 18034D16
	s_waitcnt lgkmcnt(0)                                       // 000000005654: BF8CC07F
	v_mfma_f32_16x16x16_bf16 v[40:43], a[144:145], v[32:33], v[40:43]// 000000005658: D3E10028 0CA24190
	ds_read_b128 a[176:179], v7 offset:45312                   // 000000005660: DBFEB100 B0000007
	ds_read_b128 a[180:183], v7 offset:46336                   // 000000005668: DBFEB500 B4000007
	v_mfma_f32_16x16x16_bf16 v[44:47], a[146:147], v[32:33], v[44:47]// 000000005670: D3E1002C 0CB24192
	v_mfma_f32_16x16x16_bf16 v[48:51], a[148:149], v[32:33], v[48:51]// 000000005678: D3E10030 0CC24194
	v_mfma_f32_16x16x16_bf16 v[52:55], a[150:151], v[32:33], v[52:55]// 000000005680: D3E10034 0CD24196
	v_mfma_f32_16x16x16_bf16 v[56:59], a[152:153], v[32:33], v[56:59]// 000000005688: D3E10038 0CE24198
	ds_read_b128 a[184:187], v7 offset:47360                   // 000000005690: DBFEB900 B8000007
	ds_read_b128 a[188:191], v7 offset:48384                   // 000000005698: DBFEBD00 BC000007
	v_mfma_f32_16x16x16_bf16 v[60:63], a[154:155], v[32:33], v[60:63]// 0000000056A0: D3E1003C 0CF2419A
	v_mfma_f32_16x16x16_bf16 v[64:67], a[156:157], v[32:33], v[64:67]// 0000000056A8: D3E10040 0D02419C
	v_mfma_f32_16x16x16_bf16 v[68:71], a[158:159], v[32:33], v[68:71]// 0000000056B0: D3E10044 0D12419E
	v_mfma_f32_16x16x16_bf16 v[72:75], a[160:161], v[32:33], v[72:75]// 0000000056B8: D3E10048 0D2241A0
	ds_read_b128 a[192:195], v7 offset:49408                   // 0000000056C0: DBFEC100 C0000007
	ds_read_b128 a[196:199], v7 offset:50432                   // 0000000056C8: DBFEC500 C4000007
	v_mfma_f32_16x16x16_bf16 v[76:79], a[162:163], v[32:33], v[76:79]// 0000000056D0: D3E1004C 0D3241A2
	v_mfma_f32_16x16x16_bf16 v[80:83], a[164:165], v[32:33], v[80:83]// 0000000056D8: D3E10050 0D4241A4
	v_mfma_f32_16x16x16_bf16 v[84:87], a[166:167], v[32:33], v[84:87]// 0000000056E0: D3E10054 0D5241A6
	v_mfma_f32_16x16x16_bf16 v[88:91], a[168:169], v[32:33], v[88:91]// 0000000056E8: D3E10058 0D6241A8
	ds_read_b128 a[200:203], v7 offset:51456                   // 0000000056F0: DBFEC900 C8000007
	ds_read_b128 a[204:207], v7 offset:52480                   // 0000000056F8: DBFECD00 CC000007
	v_mfma_f32_16x16x16_bf16 v[92:95], a[170:171], v[32:33], v[92:95]// 000000005700: D3E1005C 0D7241AA
	v_mfma_f32_16x16x16_bf16 v[96:99], a[172:173], v[32:33], v[96:99]// 000000005708: D3E10060 0D8241AC
	v_mfma_f32_16x16x16_bf16 v[100:103], a[174:175], v[32:33], v[100:103]// 000000005710: D3E10064 0D9241AE
	s_waitcnt lgkmcnt(4)                                       // 000000005718: BF8CC47F
	v_mfma_f32_16x16x16_bf16 v[104:107], a[176:177], v[32:33], v[104:107]// 00000000571C: D3E10068 0DA241B0
	v_mfma_f32_16x16x16_bf16 v[108:111], a[178:179], v[32:33], v[108:111]// 000000005724: D3E1006C 0DB241B2
	v_mfma_f32_16x16x16_bf16 v[112:115], a[180:181], v[32:33], v[112:115]// 00000000572C: D3E10070 0DC241B4
	s_waitcnt vmcnt(18) lgkmcnt(0)                             // 000000005734: BF8C4072
	s_barrier                                                  // 000000005738: BF8A0000
	v_mfma_f32_16x16x16_bf16 v[116:119], a[182:183], v[32:33], v[116:119]// 00000000573C: D3E10074 0DD241B6
	v_mfma_f32_16x16x16_bf16 v[120:123], a[184:185], v[32:33], v[120:123]// 000000005744: D3E10078 0DE241B8
	v_mfma_f32_16x16x16_bf16 v[124:127], a[186:187], v[32:33], v[124:127]// 00000000574C: D3E1007C 0DF241BA
	v_mfma_f32_16x16x16_bf16 v[128:131], a[188:189], v[32:33], v[128:131]// 000000005754: D3E10080 0E0241BC
	v_mfma_f32_16x16x16_bf16 v[132:135], a[190:191], v[32:33], v[132:135]// 00000000575C: D3E10084 0E1241BE
	v_mfma_f32_16x16x16_bf16 v[136:139], a[192:193], v[32:33], v[136:139]// 000000005764: D3E10088 0E2241C0
	v_mfma_f32_16x16x16_bf16 v[140:143], a[194:195], v[32:33], v[140:143]// 00000000576C: D3E1008C 0E3241C2
	v_mfma_f32_16x16x16_bf16 v[144:147], a[196:197], v[32:33], v[144:147]// 000000005774: D3E10090 0E4241C4
	v_mfma_f32_16x16x16_bf16 v[148:151], a[198:199], v[32:33], v[148:151]// 00000000577C: D3E10094 0E5241C6
	v_mfma_f32_16x16x16_bf16 v[152:155], a[200:201], v[32:33], v[152:155]// 000000005784: D3E10098 0E6241C8
	v_mfma_f32_16x16x16_bf16 v[156:159], a[202:203], v[32:33], v[156:159]// 00000000578C: D3E1009C 0E7241CA
	v_mfma_f32_16x16x16_bf16 v[160:163], a[204:205], v[32:33], v[160:163]// 000000005794: D3E100A0 0E8241CC
	v_mfma_f32_16x16x16_bf16 v[164:167], a[206:207], v[32:33], v[164:167]// 00000000579C: D3E100A4 0E9241CE
	s_nop 8                                                    // 0000000057A4: BF800008
	s_branch label_11EB                                        // 0000000057A8: BF820000

00000000000057ac <label_11EB>:
	ds_write_b32 v3, v14 offset:55552                          // 0000000057AC: D81AD900 00000E03
	ds_write_b32 v3, v15 offset:56576                          // 0000000057B4: D81ADD00 00000F03
	s_waitcnt lgkmcnt(0)                                       // 0000000057BC: BF8CC07F
	ds_read_b32 v20, v2 offset:55552                           // 0000000057C0: D86CD900 14000002
	ds_read_b32 v21, v2 offset:55616                           // 0000000057C8: D86CD940 15000002
	ds_read_b32 v22, v2 offset:55680                           // 0000000057D0: D86CD980 16000002
	ds_read_b32 v23, v2 offset:55744                           // 0000000057D8: D86CD9C0 17000002
	ds_read_b32 v24, v2 offset:56576                           // 0000000057E0: D86CDD00 18000002
	ds_read_b32 v25, v2 offset:56640                           // 0000000057E8: D86CDD40 19000002
	ds_read_b32 v26, v2 offset:56704                           // 0000000057F0: D86CDD80 1A000002
	ds_read_b32 v27, v2 offset:56768                           // 0000000057F8: D86CDDC0 1B000002
	s_waitcnt lgkmcnt(0)                                       // 000000005800: BF8CC07F
	v_mov_b32_e32 v14, 0                                       // 000000005804: 7E1C0280
	v_mov_b32_e32 v15, 0                                       // 000000005808: 7E1E0280
	v_add_f32_e32 v14, v20, v14                                // 00000000580C: 021C1D14
	v_add_f32_e32 v15, v24, v15                                // 000000005810: 021E1F18
	v_add_f32_e32 v14, v21, v14                                // 000000005814: 021C1D15
	v_add_f32_e32 v15, v25, v15                                // 000000005818: 021E1F19
	v_add_f32_e32 v14, v22, v14                                // 00000000581C: 021C1D16
	v_add_f32_e32 v15, v26, v15                                // 000000005820: 021E1F1A
	v_add_f32_e32 v14, v23, v14                                // 000000005824: 021C1D17
	v_add_f32_e32 v15, v27, v15                                // 000000005828: 021E1F1B
	v_mov_b32_e32 v20, 0                                       // 00000000582C: 7E280280
	v_cmp_eq_u32_e64 s[38:39], v20, v14                        // 000000005830: D0CA0026 00021D14
	v_cmp_eq_u32_e64 s[40:41], v20, v15                        // 000000005838: D0CA0028 00021F14
	v_mul_f32_e64 v20, v12, s64                                // 000000005840: D1050014 0000810C
	v_mul_f32_e64 v22, v13, s64                                // 000000005848: D1050016 0000810D
	v_log_f32_e32 v21, v14                                     // 000000005850: 7E2A430E
	v_log_f32_e32 v23, v15                                     // 000000005854: 7E2E430F
	v_cndmask_b32_e64 v14, v14, 1.0, s[38:39]                  // 000000005858: D100000E 0099E50E
	v_cndmask_b32_e64 v15, v15, 1.0, s[40:41]                  // 000000005860: D100000F 00A1E50F
	s_nop 1                                                    // 000000005868: BF800001
	v_rcp_f32_e32 v14, v14                                     // 00000000586C: 7E1C450E
	v_rcp_f32_e32 v15, v15                                     // 000000005870: 7E1E450F
	s_nop 1                                                    // 000000005874: BF800001
	v_fma_f32 v24, v21, s63, v20                               // 000000005878: D1CB0018 04507F15
	v_fma_f32 v25, v23, s63, v22                               // 000000005880: D1CB0019 04587F17
	v_mul_f32_e32 v40, v14, v40                                // 000000005888: 0A50510E
	v_mul_f32_e32 v41, v14, v41                                // 00000000588C: 0A52530E
	v_mul_f32_e32 v42, v14, v42                                // 000000005890: 0A54550E
	v_mul_f32_e32 v43, v14, v43                                // 000000005894: 0A56570E
	v_mul_f32_e32 v44, v14, v44                                // 000000005898: 0A58590E
	v_mul_f32_e32 v45, v14, v45                                // 00000000589C: 0A5A5B0E
	v_mul_f32_e32 v46, v14, v46                                // 0000000058A0: 0A5C5D0E
	v_mul_f32_e32 v47, v14, v47                                // 0000000058A4: 0A5E5F0E
	v_mul_f32_e32 v48, v14, v48                                // 0000000058A8: 0A60610E
	v_mul_f32_e32 v49, v14, v49                                // 0000000058AC: 0A62630E
	v_mul_f32_e32 v50, v14, v50                                // 0000000058B0: 0A64650E
	v_mul_f32_e32 v51, v14, v51                                // 0000000058B4: 0A66670E
	v_mul_f32_e32 v52, v14, v52                                // 0000000058B8: 0A68690E
	v_mul_f32_e32 v53, v14, v53                                // 0000000058BC: 0A6A6B0E
	v_mul_f32_e32 v54, v14, v54                                // 0000000058C0: 0A6C6D0E
	v_mul_f32_e32 v55, v14, v55                                // 0000000058C4: 0A6E6F0E
	v_mul_f32_e32 v56, v14, v56                                // 0000000058C8: 0A70710E
	v_mul_f32_e32 v57, v14, v57                                // 0000000058CC: 0A72730E
	v_mul_f32_e32 v58, v14, v58                                // 0000000058D0: 0A74750E
	v_mul_f32_e32 v59, v14, v59                                // 0000000058D4: 0A76770E
	v_mul_f32_e32 v60, v14, v60                                // 0000000058D8: 0A78790E
	v_mul_f32_e32 v61, v14, v61                                // 0000000058DC: 0A7A7B0E
	v_mul_f32_e32 v62, v14, v62                                // 0000000058E0: 0A7C7D0E
	v_mul_f32_e32 v63, v14, v63                                // 0000000058E4: 0A7E7F0E
	v_mul_f32_e32 v64, v14, v64                                // 0000000058E8: 0A80810E
	v_mul_f32_e32 v65, v14, v65                                // 0000000058EC: 0A82830E
	v_mul_f32_e32 v66, v14, v66                                // 0000000058F0: 0A84850E
	v_mul_f32_e32 v67, v14, v67                                // 0000000058F4: 0A86870E
	v_mul_f32_e32 v68, v14, v68                                // 0000000058F8: 0A88890E
	v_mul_f32_e32 v69, v14, v69                                // 0000000058FC: 0A8A8B0E
	v_mul_f32_e32 v70, v14, v70                                // 000000005900: 0A8C8D0E
	v_mul_f32_e32 v71, v14, v71                                // 000000005904: 0A8E8F0E
	v_mul_f32_e32 v72, v14, v72                                // 000000005908: 0A90910E
	v_mul_f32_e32 v73, v14, v73                                // 00000000590C: 0A92930E
	v_mul_f32_e32 v74, v14, v74                                // 000000005910: 0A94950E
	v_mul_f32_e32 v75, v14, v75                                // 000000005914: 0A96970E
	v_mul_f32_e32 v76, v14, v76                                // 000000005918: 0A98990E
	v_mul_f32_e32 v77, v14, v77                                // 00000000591C: 0A9A9B0E
	v_mul_f32_e32 v78, v14, v78                                // 000000005920: 0A9C9D0E
	v_mul_f32_e32 v79, v14, v79                                // 000000005924: 0A9E9F0E
	v_mul_f32_e32 v80, v14, v80                                // 000000005928: 0AA0A10E
	v_mul_f32_e32 v81, v14, v81                                // 00000000592C: 0AA2A30E
	v_mul_f32_e32 v82, v14, v82                                // 000000005930: 0AA4A50E
	v_mul_f32_e32 v83, v14, v83                                // 000000005934: 0AA6A70E
	v_mul_f32_e32 v84, v14, v84                                // 000000005938: 0AA8A90E
	v_mul_f32_e32 v85, v14, v85                                // 00000000593C: 0AAAAB0E
	v_mul_f32_e32 v86, v14, v86                                // 000000005940: 0AACAD0E
	v_mul_f32_e32 v87, v14, v87                                // 000000005944: 0AAEAF0E
	v_mul_f32_e32 v88, v14, v88                                // 000000005948: 0AB0B10E
	v_mul_f32_e32 v89, v14, v89                                // 00000000594C: 0AB2B30E
	v_mul_f32_e32 v90, v14, v90                                // 000000005950: 0AB4B50E
	v_mul_f32_e32 v91, v14, v91                                // 000000005954: 0AB6B70E
	v_mul_f32_e32 v92, v14, v92                                // 000000005958: 0AB8B90E
	v_mul_f32_e32 v93, v14, v93                                // 00000000595C: 0ABABB0E
	v_mul_f32_e32 v94, v14, v94                                // 000000005960: 0ABCBD0E
	v_mul_f32_e32 v95, v14, v95                                // 000000005964: 0ABEBF0E
	v_mul_f32_e32 v96, v14, v96                                // 000000005968: 0AC0C10E
	v_mul_f32_e32 v97, v14, v97                                // 00000000596C: 0AC2C30E
	v_mul_f32_e32 v98, v14, v98                                // 000000005970: 0AC4C50E
	v_mul_f32_e32 v99, v14, v99                                // 000000005974: 0AC6C70E
	v_mul_f32_e32 v100, v14, v100                              // 000000005978: 0AC8C90E
	v_mul_f32_e32 v101, v14, v101                              // 00000000597C: 0ACACB0E
	v_mul_f32_e32 v102, v14, v102                              // 000000005980: 0ACCCD0E
	v_mul_f32_e32 v103, v14, v103                              // 000000005984: 0ACECF0E
	v_mul_f32_e32 v104, v14, v104                              // 000000005988: 0AD0D10E
	v_mul_f32_e32 v105, v14, v105                              // 00000000598C: 0AD2D30E
	v_mul_f32_e32 v106, v14, v106                              // 000000005990: 0AD4D50E
	v_mul_f32_e32 v107, v14, v107                              // 000000005994: 0AD6D70E
	v_mul_f32_e32 v108, v14, v108                              // 000000005998: 0AD8D90E
	v_mul_f32_e32 v109, v14, v109                              // 00000000599C: 0ADADB0E
	v_mul_f32_e32 v110, v14, v110                              // 0000000059A0: 0ADCDD0E
	v_mul_f32_e32 v111, v14, v111                              // 0000000059A4: 0ADEDF0E
	v_mul_f32_e32 v112, v14, v112                              // 0000000059A8: 0AE0E10E
	v_mul_f32_e32 v113, v14, v113                              // 0000000059AC: 0AE2E30E
	v_mul_f32_e32 v114, v14, v114                              // 0000000059B0: 0AE4E50E
	v_mul_f32_e32 v115, v14, v115                              // 0000000059B4: 0AE6E70E
	v_mul_f32_e32 v116, v14, v116                              // 0000000059B8: 0AE8E90E
	v_mul_f32_e32 v117, v14, v117                              // 0000000059BC: 0AEAEB0E
	v_mul_f32_e32 v118, v14, v118                              // 0000000059C0: 0AECED0E
	v_mul_f32_e32 v119, v14, v119                              // 0000000059C4: 0AEEEF0E
	v_mul_f32_e32 v120, v14, v120                              // 0000000059C8: 0AF0F10E
	v_mul_f32_e32 v121, v14, v121                              // 0000000059CC: 0AF2F30E
	v_mul_f32_e32 v122, v14, v122                              // 0000000059D0: 0AF4F50E
	v_mul_f32_e32 v123, v14, v123                              // 0000000059D4: 0AF6F70E
	v_mul_f32_e32 v124, v14, v124                              // 0000000059D8: 0AF8F90E
	v_mul_f32_e32 v125, v14, v125                              // 0000000059DC: 0AFAFB0E
	v_mul_f32_e32 v126, v14, v126                              // 0000000059E0: 0AFCFD0E
	v_mul_f32_e32 v127, v14, v127                              // 0000000059E4: 0AFEFF0E
	v_mul_f32_e32 v128, v14, v128                              // 0000000059E8: 0B01010E
	v_mul_f32_e32 v129, v14, v129                              // 0000000059EC: 0B03030E
	v_mul_f32_e32 v130, v14, v130                              // 0000000059F0: 0B05050E
	v_mul_f32_e32 v131, v14, v131                              // 0000000059F4: 0B07070E
	v_mul_f32_e32 v132, v14, v132                              // 0000000059F8: 0B09090E
	v_mul_f32_e32 v133, v14, v133                              // 0000000059FC: 0B0B0B0E
	v_mul_f32_e32 v134, v14, v134                              // 000000005A00: 0B0D0D0E
	v_mul_f32_e32 v135, v14, v135                              // 000000005A04: 0B0F0F0E
	v_mul_f32_e32 v136, v14, v136                              // 000000005A08: 0B11110E
	v_mul_f32_e32 v137, v14, v137                              // 000000005A0C: 0B13130E
	v_mul_f32_e32 v138, v14, v138                              // 000000005A10: 0B15150E
	v_mul_f32_e32 v139, v14, v139                              // 000000005A14: 0B17170E
	v_mul_f32_e32 v140, v14, v140                              // 000000005A18: 0B19190E
	v_mul_f32_e32 v141, v14, v141                              // 000000005A1C: 0B1B1B0E
	v_mul_f32_e32 v142, v14, v142                              // 000000005A20: 0B1D1D0E
	v_mul_f32_e32 v143, v14, v143                              // 000000005A24: 0B1F1F0E
	v_mul_f32_e32 v144, v14, v144                              // 000000005A28: 0B21210E
	v_mul_f32_e32 v145, v14, v145                              // 000000005A2C: 0B23230E
	v_mul_f32_e32 v146, v14, v146                              // 000000005A30: 0B25250E
	v_mul_f32_e32 v147, v14, v147                              // 000000005A34: 0B27270E
	v_mul_f32_e32 v148, v14, v148                              // 000000005A38: 0B29290E
	v_mul_f32_e32 v149, v14, v149                              // 000000005A3C: 0B2B2B0E
	v_mul_f32_e32 v150, v14, v150                              // 000000005A40: 0B2D2D0E
	v_mul_f32_e32 v151, v14, v151                              // 000000005A44: 0B2F2F0E
	v_mul_f32_e32 v152, v14, v152                              // 000000005A48: 0B31310E
	v_mul_f32_e32 v153, v14, v153                              // 000000005A4C: 0B33330E
	v_mul_f32_e32 v154, v14, v154                              // 000000005A50: 0B35350E
	v_mul_f32_e32 v155, v14, v155                              // 000000005A54: 0B37370E
	v_mul_f32_e32 v156, v14, v156                              // 000000005A58: 0B39390E
	v_mul_f32_e32 v157, v14, v157                              // 000000005A5C: 0B3B3B0E
	v_mul_f32_e32 v158, v14, v158                              // 000000005A60: 0B3D3D0E
	v_mul_f32_e32 v159, v14, v159                              // 000000005A64: 0B3F3F0E
	v_mul_f32_e32 v160, v14, v160                              // 000000005A68: 0B41410E
	v_mul_f32_e32 v161, v14, v161                              // 000000005A6C: 0B43430E
	v_mul_f32_e32 v162, v14, v162                              // 000000005A70: 0B45450E
	v_mul_f32_e32 v163, v14, v163                              // 000000005A74: 0B47470E
	v_mul_f32_e32 v164, v14, v164                              // 000000005A78: 0B49490E
	v_mul_f32_e32 v165, v14, v165                              // 000000005A7C: 0B4B4B0E
	v_mul_f32_e32 v166, v14, v166                              // 000000005A80: 0B4D4D0E
	v_mul_f32_e32 v167, v14, v167                              // 000000005A84: 0B4F4F0E
	s_cmp_le_u32 s67, 1                                        // 000000005A88: BF0B8143
	s_cbranch_scc0 label_17A5                                  // 000000005A8C: BF840501
	s_mul_i32 s75, 0x400, s65                                  // 000000005A90: 924B41FF 00000400
	s_mul_i32 s76, s67, s75                                    // 000000005A98: 924C4B43
	s_add_u32 s56, s80, s79                                    // 000000005A9C: 80384F50
	v_mov_b32_e32 v20, s56                                     // 000000005AA0: 7E280238
	v_mul_lo_u32 v21, s76, v20                                 // 000000005AA4: D2850015 0002284C
	v_mul_hi_u32 v22, s76, v20                                 // 000000005AAC: D2860016 0002284C
	s_nop 2                                                    // 000000005AB4: BF800002
	v_readfirstlane_b32 s56, v21                               // 000000005AB8: 7E700515
	v_readfirstlane_b32 s57, v22                               // 000000005ABC: 7E720516
	s_nop 4                                                    // 000000005AC0: BF800004
	s_add_u32 s8, s56, s8                                      // 000000005AC4: 80080838
	s_addc_u32 s9, s57, s9                                     // 000000005AC8: 82090939
	s_sub_u32 s56, s81, s80                                    // 000000005ACC: 80B85051
	s_mul_i32 s56, s56, s76                                    // 000000005AD0: 92384C38
	s_mov_b32 s10, s56                                         // 000000005AD4: BE8A0038
	v_and_b32_e32 v20, 7, v0                                   // 000000005AD8: 26280087
	v_lshlrev_b32_e32 v18, 4, v20                              // 000000005ADC: 24242884
	v_lshrrev_b32_e32 v20, 3, v0                               // 000000005AE0: 20280083
	v_mul_i32_i24_e32 v20, 0x400, v20                          // 000000005AE4: 0C2828FF 00000400
	v_add_u32_e32 v18, v18, v20                                // 000000005AEC: 68242912
	s_mul_i32 s56, s4, s75                                     // 000000005AF0: 92384B04
	v_add_u32_e64 v18, v18, s56                                // 000000005AF4: D1340012 00007112
	s_mul_i32 s56, s7, s76                                     // 000000005AFC: 92384C07
	v_add_u32_e64 v18, v18, s56                                // 000000005B00: D1340012 00007112
	v_mov_b32_e32 v19, v18                                     // 000000005B08: 7E260312
	s_waitcnt vmcnt(0) lgkmcnt(0)                              // 000000005B0C: BF8C0070
	s_barrier                                                  // 000000005B10: BF8A0000
	s_mul_i32 s75, 0x400, s65                                  // 000000005B14: 924B41FF 00000400
	s_mul_i32 s76, s67, s75                                    // 000000005B1C: 924C4B43
	v_lshrrev_b32_e32 v20, 4, v0                               // 000000005B20: 20280084
	v_mul_i32_i24_e32 v5, 0x48, v20                            // 000000005B24: 0C0A28FF 00000048
	v_and_b32_e32 v20, 15, v0                                  // 000000005B2C: 2628008F
	v_mul_i32_i24_e32 v20, 2, v20                              // 000000005B30: 0C282882
	v_add_u32_e32 v5, v20, v5                                  // 000000005B34: 680A0B14
	s_mul_i32 s56, s7, 0x480                                   // 000000005B38: 9238FF07 00000480
	v_add_u32_e32 v5, s56, v5                                  // 000000005B40: 680A0A38
	v_lshlrev_b32_e32 v5, 2, v5                                // 000000005B44: 240A0A82
	v_lshrrev_b32_e32 v20, 3, v0                               // 000000005B48: 20280083
	v_mul_i32_i24_e32 v4, 2, v20                               // 000000005B4C: 0C082882
	v_and_b32_e32 v20, 7, v0                                   // 000000005B50: 26280087
	v_mul_i32_i24_e32 v20, 36, v20                             // 000000005B54: 0C2828A4
	v_add_u32_e32 v4, v20, v4                                  // 000000005B58: 68080914
	s_mul_i32 s56, s7, 0x480                                   // 000000005B5C: 9238FF07 00000480
	v_add_u32_e32 v4, s56, v4                                  // 000000005B64: 68080838
	v_lshlrev_b32_e32 v4, 2, v4                                // 000000005B68: 24080882
	v_mov_b32_e32 v29, 0xffff0000                              // 000000005B6C: 7E3A02FF FFFF0000
	v_mov_b32_e32 v30, 0x7fff0000                              // 000000005B74: 7E3C02FF 7FFF0000
	v_mov_b32_e32 v31, 0x7fff                                  // 000000005B7C: 7E3E02FF 00007FFF
	s_mul_i32 s56, 0, s76                                      // 000000005B84: 92384C80
	v_add_u32_e64 v19, v19, s56                                // 000000005B88: D1340013 00007113
	v_mov_b32_e32 v24, v40                                     // 000000005B90: 7E300328
	v_mov_b32_e32 v25, v44                                     // 000000005B94: 7E32032C
	v_mov_b32_e32 v26, v48                                     // 000000005B98: 7E340330
	v_mov_b32_e32 v27, v52                                     // 000000005B9C: 7E360334
	v_cmp_u_f32_e64 s[38:39], v24, v24                         // 000000005BA0: D0480026 00023118
	v_add3_u32 v28, v24, v31, 1                                // 000000005BA8: D1FF001C 02063F18
	v_cndmask_b32_e64 v20, v28, v30, s[38:39]                  // 000000005BB0: D1000014 009A3D1C
	v_cmp_u_f32_e64 s[38:39], v25, v25                         // 000000005BB8: D0480026 00023319
	v_add3_u32 v28, v25, v31, 1                                // 000000005BC0: D1FF001C 02063F19
	v_cndmask_b32_e64 v21, v28, v30, s[38:39]                  // 000000005BC8: D1000015 009A3D1C
	v_perm_b32 v24, v21, v20, s52                              // 000000005BD0: D1ED0018 00D22915
	v_cmp_u_f32_e64 s[38:39], v26, v26                         // 000000005BD8: D0480026 0002351A
	v_add3_u32 v28, v26, v31, 1                                // 000000005BE0: D1FF001C 02063F1A
	v_cndmask_b32_e64 v20, v28, v30, s[38:39]                  // 000000005BE8: D1000014 009A3D1C
	v_cmp_u_f32_e64 s[38:39], v27, v27                         // 000000005BF0: D0480026 0002371B
	v_add3_u32 v28, v27, v31, 1                                // 000000005BF8: D1FF001C 02063F1B
	v_cndmask_b32_e64 v21, v28, v30, s[38:39]                  // 000000005C00: D1000015 009A3D1C
	v_perm_b32 v25, v21, v20, s52                              // 000000005C08: D1ED0019 00D22915
	ds_write_b64 v5, v[24:25]                                  // 000000005C10: D89A0000 00001805
	v_mov_b32_e32 v24, v41                                     // 000000005C18: 7E300329
	v_mov_b32_e32 v25, v45                                     // 000000005C1C: 7E32032D
	v_mov_b32_e32 v26, v49                                     // 000000005C20: 7E340331
	v_mov_b32_e32 v27, v53                                     // 000000005C24: 7E360335
	v_cmp_u_f32_e64 s[38:39], v24, v24                         // 000000005C28: D0480026 00023118
	v_add3_u32 v28, v24, v31, 1                                // 000000005C30: D1FF001C 02063F18
	v_cndmask_b32_e64 v20, v28, v30, s[38:39]                  // 000000005C38: D1000014 009A3D1C
	v_cmp_u_f32_e64 s[38:39], v25, v25                         // 000000005C40: D0480026 00023319
	v_add3_u32 v28, v25, v31, 1                                // 000000005C48: D1FF001C 02063F19
	v_cndmask_b32_e64 v21, v28, v30, s[38:39]                  // 000000005C50: D1000015 009A3D1C
	v_perm_b32 v24, v21, v20, s52                              // 000000005C58: D1ED0018 00D22915
	v_cmp_u_f32_e64 s[38:39], v26, v26                         // 000000005C60: D0480026 0002351A
	v_add3_u32 v28, v26, v31, 1                                // 000000005C68: D1FF001C 02063F1A
	v_cndmask_b32_e64 v20, v28, v30, s[38:39]                  // 000000005C70: D1000014 009A3D1C
	v_cmp_u_f32_e64 s[38:39], v27, v27                         // 000000005C78: D0480026 0002371B
	v_add3_u32 v28, v27, v31, 1                                // 000000005C80: D1FF001C 02063F1B
	v_cndmask_b32_e64 v21, v28, v30, s[38:39]                  // 000000005C88: D1000015 009A3D1C
	v_perm_b32 v25, v21, v20, s52                              // 000000005C90: D1ED0019 00D22915
	ds_write_b64 v5, v[24:25] offset:1152                      // 000000005C98: D89A0480 00001805
	v_mov_b32_e32 v24, v42                                     // 000000005CA0: 7E30032A
	v_mov_b32_e32 v25, v46                                     // 000000005CA4: 7E32032E
	v_mov_b32_e32 v26, v50                                     // 000000005CA8: 7E340332
	v_mov_b32_e32 v27, v54                                     // 000000005CAC: 7E360336
	v_cmp_u_f32_e64 s[38:39], v24, v24                         // 000000005CB0: D0480026 00023118
	v_add3_u32 v28, v24, v31, 1                                // 000000005CB8: D1FF001C 02063F18
	v_cndmask_b32_e64 v20, v28, v30, s[38:39]                  // 000000005CC0: D1000014 009A3D1C
	v_cmp_u_f32_e64 s[38:39], v25, v25                         // 000000005CC8: D0480026 00023319
	v_add3_u32 v28, v25, v31, 1                                // 000000005CD0: D1FF001C 02063F19
	v_cndmask_b32_e64 v21, v28, v30, s[38:39]                  // 000000005CD8: D1000015 009A3D1C
	v_perm_b32 v24, v21, v20, s52                              // 000000005CE0: D1ED0018 00D22915
	v_cmp_u_f32_e64 s[38:39], v26, v26                         // 000000005CE8: D0480026 0002351A
	v_add3_u32 v28, v26, v31, 1                                // 000000005CF0: D1FF001C 02063F1A
	v_cndmask_b32_e64 v20, v28, v30, s[38:39]                  // 000000005CF8: D1000014 009A3D1C
	v_cmp_u_f32_e64 s[38:39], v27, v27                         // 000000005D00: D0480026 0002371B
	v_add3_u32 v28, v27, v31, 1                                // 000000005D08: D1FF001C 02063F1B
	v_cndmask_b32_e64 v21, v28, v30, s[38:39]                  // 000000005D10: D1000015 009A3D1C
	v_perm_b32 v25, v21, v20, s52                              // 000000005D18: D1ED0019 00D22915
	ds_write_b64 v5, v[24:25] offset:144                       // 000000005D20: D89A0090 00001805
	v_mov_b32_e32 v24, v43                                     // 000000005D28: 7E30032B
	v_mov_b32_e32 v25, v47                                     // 000000005D2C: 7E32032F
	v_mov_b32_e32 v26, v51                                     // 000000005D30: 7E340333
	v_mov_b32_e32 v27, v55                                     // 000000005D34: 7E360337
	v_cmp_u_f32_e64 s[38:39], v24, v24                         // 000000005D38: D0480026 00023118
	v_add3_u32 v28, v24, v31, 1                                // 000000005D40: D1FF001C 02063F18
	v_cndmask_b32_e64 v20, v28, v30, s[38:39]                  // 000000005D48: D1000014 009A3D1C
	v_cmp_u_f32_e64 s[38:39], v25, v25                         // 000000005D50: D0480026 00023319
	v_add3_u32 v28, v25, v31, 1                                // 000000005D58: D1FF001C 02063F19
	v_cndmask_b32_e64 v21, v28, v30, s[38:39]                  // 000000005D60: D1000015 009A3D1C
	v_perm_b32 v24, v21, v20, s52                              // 000000005D68: D1ED0018 00D22915
	v_cmp_u_f32_e64 s[38:39], v26, v26                         // 000000005D70: D0480026 0002351A
	v_add3_u32 v28, v26, v31, 1                                // 000000005D78: D1FF001C 02063F1A
	v_cndmask_b32_e64 v20, v28, v30, s[38:39]                  // 000000005D80: D1000014 009A3D1C
	v_cmp_u_f32_e64 s[38:39], v27, v27                         // 000000005D88: D0480026 0002371B
	v_add3_u32 v28, v27, v31, 1                                // 000000005D90: D1FF001C 02063F1B
	v_cndmask_b32_e64 v21, v28, v30, s[38:39]                  // 000000005D98: D1000015 009A3D1C
	v_perm_b32 v25, v21, v20, s52                              // 000000005DA0: D1ED0019 00D22915
	ds_write_b64 v5, v[24:25] offset:1296                      // 000000005DA8: D89A0510 00001805
	v_mov_b32_e32 v24, v56                                     // 000000005DB0: 7E300338
	v_mov_b32_e32 v25, v60                                     // 000000005DB4: 7E32033C
	v_mov_b32_e32 v26, v64                                     // 000000005DB8: 7E340340
	v_mov_b32_e32 v27, v68                                     // 000000005DBC: 7E360344
	v_cmp_u_f32_e64 s[38:39], v24, v24                         // 000000005DC0: D0480026 00023118
	v_add3_u32 v28, v24, v31, 1                                // 000000005DC8: D1FF001C 02063F18
	v_cndmask_b32_e64 v20, v28, v30, s[38:39]                  // 000000005DD0: D1000014 009A3D1C
	v_cmp_u_f32_e64 s[38:39], v25, v25                         // 000000005DD8: D0480026 00023319
	v_add3_u32 v28, v25, v31, 1                                // 000000005DE0: D1FF001C 02063F19
	v_cndmask_b32_e64 v21, v28, v30, s[38:39]                  // 000000005DE8: D1000015 009A3D1C
	v_perm_b32 v24, v21, v20, s52                              // 000000005DF0: D1ED0018 00D22915
	v_cmp_u_f32_e64 s[38:39], v26, v26                         // 000000005DF8: D0480026 0002351A
	v_add3_u32 v28, v26, v31, 1                                // 000000005E00: D1FF001C 02063F1A
	v_cndmask_b32_e64 v20, v28, v30, s[38:39]                  // 000000005E08: D1000014 009A3D1C
	v_cmp_u_f32_e64 s[38:39], v27, v27                         // 000000005E10: D0480026 0002371B
	v_add3_u32 v28, v27, v31, 1                                // 000000005E18: D1FF001C 02063F1B
	v_cndmask_b32_e64 v21, v28, v30, s[38:39]                  // 000000005E20: D1000015 009A3D1C
	v_perm_b32 v25, v21, v20, s52                              // 000000005E28: D1ED0019 00D22915
	ds_write_b64 v5, v[24:25] offset:2304                      // 000000005E30: D89A0900 00001805
	v_mov_b32_e32 v24, v57                                     // 000000005E38: 7E300339
	v_mov_b32_e32 v25, v61                                     // 000000005E3C: 7E32033D
	v_mov_b32_e32 v26, v65                                     // 000000005E40: 7E340341
	v_mov_b32_e32 v27, v69                                     // 000000005E44: 7E360345
	v_cmp_u_f32_e64 s[38:39], v24, v24                         // 000000005E48: D0480026 00023118
	v_add3_u32 v28, v24, v31, 1                                // 000000005E50: D1FF001C 02063F18
	v_cndmask_b32_e64 v20, v28, v30, s[38:39]                  // 000000005E58: D1000014 009A3D1C
	v_cmp_u_f32_e64 s[38:39], v25, v25                         // 000000005E60: D0480026 00023319
	v_add3_u32 v28, v25, v31, 1                                // 000000005E68: D1FF001C 02063F19
	v_cndmask_b32_e64 v21, v28, v30, s[38:39]                  // 000000005E70: D1000015 009A3D1C
	v_perm_b32 v24, v21, v20, s52                              // 000000005E78: D1ED0018 00D22915
	v_cmp_u_f32_e64 s[38:39], v26, v26                         // 000000005E80: D0480026 0002351A
	v_add3_u32 v28, v26, v31, 1                                // 000000005E88: D1FF001C 02063F1A
	v_cndmask_b32_e64 v20, v28, v30, s[38:39]                  // 000000005E90: D1000014 009A3D1C
	v_cmp_u_f32_e64 s[38:39], v27, v27                         // 000000005E98: D0480026 0002371B
	v_add3_u32 v28, v27, v31, 1                                // 000000005EA0: D1FF001C 02063F1B
	v_cndmask_b32_e64 v21, v28, v30, s[38:39]                  // 000000005EA8: D1000015 009A3D1C
	v_perm_b32 v25, v21, v20, s52                              // 000000005EB0: D1ED0019 00D22915
	ds_write_b64 v5, v[24:25] offset:3456                      // 000000005EB8: D89A0D80 00001805
	v_mov_b32_e32 v24, v58                                     // 000000005EC0: 7E30033A
	v_mov_b32_e32 v25, v62                                     // 000000005EC4: 7E32033E
	v_mov_b32_e32 v26, v66                                     // 000000005EC8: 7E340342
	v_mov_b32_e32 v27, v70                                     // 000000005ECC: 7E360346
	v_cmp_u_f32_e64 s[38:39], v24, v24                         // 000000005ED0: D0480026 00023118
	v_add3_u32 v28, v24, v31, 1                                // 000000005ED8: D1FF001C 02063F18
	v_cndmask_b32_e64 v20, v28, v30, s[38:39]                  // 000000005EE0: D1000014 009A3D1C
	v_cmp_u_f32_e64 s[38:39], v25, v25                         // 000000005EE8: D0480026 00023319
	v_add3_u32 v28, v25, v31, 1                                // 000000005EF0: D1FF001C 02063F19
	v_cndmask_b32_e64 v21, v28, v30, s[38:39]                  // 000000005EF8: D1000015 009A3D1C
	v_perm_b32 v24, v21, v20, s52                              // 000000005F00: D1ED0018 00D22915
	v_cmp_u_f32_e64 s[38:39], v26, v26                         // 000000005F08: D0480026 0002351A
	v_add3_u32 v28, v26, v31, 1                                // 000000005F10: D1FF001C 02063F1A
	v_cndmask_b32_e64 v20, v28, v30, s[38:39]                  // 000000005F18: D1000014 009A3D1C
	v_cmp_u_f32_e64 s[38:39], v27, v27                         // 000000005F20: D0480026 0002371B
	v_add3_u32 v28, v27, v31, 1                                // 000000005F28: D1FF001C 02063F1B
	v_cndmask_b32_e64 v21, v28, v30, s[38:39]                  // 000000005F30: D1000015 009A3D1C
	v_perm_b32 v25, v21, v20, s52                              // 000000005F38: D1ED0019 00D22915
	ds_write_b64 v5, v[24:25] offset:2448                      // 000000005F40: D89A0990 00001805
	v_mov_b32_e32 v24, v59                                     // 000000005F48: 7E30033B
	v_mov_b32_e32 v25, v63                                     // 000000005F4C: 7E32033F
	v_mov_b32_e32 v26, v67                                     // 000000005F50: 7E340343
	v_mov_b32_e32 v27, v71                                     // 000000005F54: 7E360347
	v_cmp_u_f32_e64 s[38:39], v24, v24                         // 000000005F58: D0480026 00023118
	v_add3_u32 v28, v24, v31, 1                                // 000000005F60: D1FF001C 02063F18
	v_cndmask_b32_e64 v20, v28, v30, s[38:39]                  // 000000005F68: D1000014 009A3D1C
	v_cmp_u_f32_e64 s[38:39], v25, v25                         // 000000005F70: D0480026 00023319
	v_add3_u32 v28, v25, v31, 1                                // 000000005F78: D1FF001C 02063F19
	v_cndmask_b32_e64 v21, v28, v30, s[38:39]                  // 000000005F80: D1000015 009A3D1C
	v_perm_b32 v24, v21, v20, s52                              // 000000005F88: D1ED0018 00D22915
	v_cmp_u_f32_e64 s[38:39], v26, v26                         // 000000005F90: D0480026 0002351A
	v_add3_u32 v28, v26, v31, 1                                // 000000005F98: D1FF001C 02063F1A
	v_cndmask_b32_e64 v20, v28, v30, s[38:39]                  // 000000005FA0: D1000014 009A3D1C
	v_cmp_u_f32_e64 s[38:39], v27, v27                         // 000000005FA8: D0480026 0002371B
	v_add3_u32 v28, v27, v31, 1                                // 000000005FB0: D1FF001C 02063F1B
	v_cndmask_b32_e64 v21, v28, v30, s[38:39]                  // 000000005FB8: D1000015 009A3D1C
	v_perm_b32 v25, v21, v20, s52                              // 000000005FC0: D1ED0019 00D22915
	ds_write_b64 v5, v[24:25] offset:3600                      // 000000005FC8: D89A0E10 00001805
	s_waitcnt lgkmcnt(4)                                       // 000000005FD0: BF8CC47F
	ds_read_b64 v[40:41], v4                                   // 000000005FD4: D8EC0000 28000004
	ds_read_b64 v[44:45], v4 offset:64                         // 000000005FDC: D8EC0040 2C000004
	ds_read_b64 v[42:43], v4 offset:1152                       // 000000005FE4: D8EC0480 2A000004
	ds_read_b64 v[46:47], v4 offset:1216                       // 000000005FEC: D8EC04C0 2E000004
	s_waitcnt lgkmcnt(4)                                       // 000000005FF4: BF8CC47F
	ds_read_b64 v[48:49], v4 offset:2304                       // 000000005FF8: D8EC0900 30000004
	ds_read_b64 v[52:53], v4 offset:2368                       // 000000006000: D8EC0940 34000004
	ds_read_b64 v[50:51], v4 offset:3456                       // 000000006008: D8EC0D80 32000004
	ds_read_b64 v[54:55], v4 offset:3520                       // 000000006010: D8EC0DC0 36000004
	s_waitcnt lgkmcnt(0)                                       // 000000006018: BF8CC07F
	v_mov_b32_e32 v18, v19                                     // 00000000601C: 7E240313
	buffer_store_dwordx4 v[40:43], v18, s[8:11], 0 offen       // 000000006020: E07C1000 80022812
	buffer_store_dwordx4 v[48:51], v18, s[8:11], 0 offen offset:128// 000000006028: E07C1080 80023012
	v_add_u32_e32 v18, 0x2000, v18                             // 000000006030: 682424FF 00002000
	buffer_store_dwordx4 v[44:47], v18, s[8:11], 0 offen       // 000000006038: E07C1000 80022C12
	buffer_store_dwordx4 v[52:55], v18, s[8:11], 0 offen offset:128// 000000006040: E07C1080 80023412
	v_add_u32_e32 v18, 0x2000, v18                             // 000000006048: 682424FF 00002000
	v_mov_b32_e32 v24, v72                                     // 000000006050: 7E300348
	v_mov_b32_e32 v25, v76                                     // 000000006054: 7E32034C
	v_mov_b32_e32 v26, v80                                     // 000000006058: 7E340350
	v_mov_b32_e32 v27, v84                                     // 00000000605C: 7E360354
	v_cmp_u_f32_e64 s[38:39], v24, v24                         // 000000006060: D0480026 00023118
	v_add3_u32 v28, v24, v31, 1                                // 000000006068: D1FF001C 02063F18
	v_cndmask_b32_e64 v20, v28, v30, s[38:39]                  // 000000006070: D1000014 009A3D1C
	v_cmp_u_f32_e64 s[38:39], v25, v25                         // 000000006078: D0480026 00023319
	v_add3_u32 v28, v25, v31, 1                                // 000000006080: D1FF001C 02063F19
	v_cndmask_b32_e64 v21, v28, v30, s[38:39]                  // 000000006088: D1000015 009A3D1C
	v_perm_b32 v24, v21, v20, s52                              // 000000006090: D1ED0018 00D22915
	v_cmp_u_f32_e64 s[38:39], v26, v26                         // 000000006098: D0480026 0002351A
	v_add3_u32 v28, v26, v31, 1                                // 0000000060A0: D1FF001C 02063F1A
	v_cndmask_b32_e64 v20, v28, v30, s[38:39]                  // 0000000060A8: D1000014 009A3D1C
	v_cmp_u_f32_e64 s[38:39], v27, v27                         // 0000000060B0: D0480026 0002371B
	v_add3_u32 v28, v27, v31, 1                                // 0000000060B8: D1FF001C 02063F1B
	v_cndmask_b32_e64 v21, v28, v30, s[38:39]                  // 0000000060C0: D1000015 009A3D1C
	v_perm_b32 v25, v21, v20, s52                              // 0000000060C8: D1ED0019 00D22915
	ds_write_b64 v5, v[24:25]                                  // 0000000060D0: D89A0000 00001805
	v_mov_b32_e32 v24, v73                                     // 0000000060D8: 7E300349
	v_mov_b32_e32 v25, v77                                     // 0000000060DC: 7E32034D
	v_mov_b32_e32 v26, v81                                     // 0000000060E0: 7E340351
	v_mov_b32_e32 v27, v85                                     // 0000000060E4: 7E360355
	v_cmp_u_f32_e64 s[38:39], v24, v24                         // 0000000060E8: D0480026 00023118
	v_add3_u32 v28, v24, v31, 1                                // 0000000060F0: D1FF001C 02063F18
	v_cndmask_b32_e64 v20, v28, v30, s[38:39]                  // 0000000060F8: D1000014 009A3D1C
	v_cmp_u_f32_e64 s[38:39], v25, v25                         // 000000006100: D0480026 00023319
	v_add3_u32 v28, v25, v31, 1                                // 000000006108: D1FF001C 02063F19
	v_cndmask_b32_e64 v21, v28, v30, s[38:39]                  // 000000006110: D1000015 009A3D1C
	v_perm_b32 v24, v21, v20, s52                              // 000000006118: D1ED0018 00D22915
	v_cmp_u_f32_e64 s[38:39], v26, v26                         // 000000006120: D0480026 0002351A
	v_add3_u32 v28, v26, v31, 1                                // 000000006128: D1FF001C 02063F1A
	v_cndmask_b32_e64 v20, v28, v30, s[38:39]                  // 000000006130: D1000014 009A3D1C
	v_cmp_u_f32_e64 s[38:39], v27, v27                         // 000000006138: D0480026 0002371B
	v_add3_u32 v28, v27, v31, 1                                // 000000006140: D1FF001C 02063F1B
	v_cndmask_b32_e64 v21, v28, v30, s[38:39]                  // 000000006148: D1000015 009A3D1C
	v_perm_b32 v25, v21, v20, s52                              // 000000006150: D1ED0019 00D22915
	ds_write_b64 v5, v[24:25] offset:1152                      // 000000006158: D89A0480 00001805
	v_mov_b32_e32 v24, v74                                     // 000000006160: 7E30034A
	v_mov_b32_e32 v25, v78                                     // 000000006164: 7E32034E
	v_mov_b32_e32 v26, v82                                     // 000000006168: 7E340352
	v_mov_b32_e32 v27, v86                                     // 00000000616C: 7E360356
	v_cmp_u_f32_e64 s[38:39], v24, v24                         // 000000006170: D0480026 00023118
	v_add3_u32 v28, v24, v31, 1                                // 000000006178: D1FF001C 02063F18
	v_cndmask_b32_e64 v20, v28, v30, s[38:39]                  // 000000006180: D1000014 009A3D1C
	v_cmp_u_f32_e64 s[38:39], v25, v25                         // 000000006188: D0480026 00023319
	v_add3_u32 v28, v25, v31, 1                                // 000000006190: D1FF001C 02063F19
	v_cndmask_b32_e64 v21, v28, v30, s[38:39]                  // 000000006198: D1000015 009A3D1C
	v_perm_b32 v24, v21, v20, s52                              // 0000000061A0: D1ED0018 00D22915
	v_cmp_u_f32_e64 s[38:39], v26, v26                         // 0000000061A8: D0480026 0002351A
	v_add3_u32 v28, v26, v31, 1                                // 0000000061B0: D1FF001C 02063F1A
	v_cndmask_b32_e64 v20, v28, v30, s[38:39]                  // 0000000061B8: D1000014 009A3D1C
	v_cmp_u_f32_e64 s[38:39], v27, v27                         // 0000000061C0: D0480026 0002371B
	v_add3_u32 v28, v27, v31, 1                                // 0000000061C8: D1FF001C 02063F1B
	v_cndmask_b32_e64 v21, v28, v30, s[38:39]                  // 0000000061D0: D1000015 009A3D1C
	v_perm_b32 v25, v21, v20, s52                              // 0000000061D8: D1ED0019 00D22915
	ds_write_b64 v5, v[24:25] offset:144                       // 0000000061E0: D89A0090 00001805
	v_mov_b32_e32 v24, v75                                     // 0000000061E8: 7E30034B
	v_mov_b32_e32 v25, v79                                     // 0000000061EC: 7E32034F
	v_mov_b32_e32 v26, v83                                     // 0000000061F0: 7E340353
	v_mov_b32_e32 v27, v87                                     // 0000000061F4: 7E360357
	v_cmp_u_f32_e64 s[38:39], v24, v24                         // 0000000061F8: D0480026 00023118
	v_add3_u32 v28, v24, v31, 1                                // 000000006200: D1FF001C 02063F18
	v_cndmask_b32_e64 v20, v28, v30, s[38:39]                  // 000000006208: D1000014 009A3D1C
	v_cmp_u_f32_e64 s[38:39], v25, v25                         // 000000006210: D0480026 00023319
	v_add3_u32 v28, v25, v31, 1                                // 000000006218: D1FF001C 02063F19
	v_cndmask_b32_e64 v21, v28, v30, s[38:39]                  // 000000006220: D1000015 009A3D1C
	v_perm_b32 v24, v21, v20, s52                              // 000000006228: D1ED0018 00D22915
	v_cmp_u_f32_e64 s[38:39], v26, v26                         // 000000006230: D0480026 0002351A
	v_add3_u32 v28, v26, v31, 1                                // 000000006238: D1FF001C 02063F1A
	v_cndmask_b32_e64 v20, v28, v30, s[38:39]                  // 000000006240: D1000014 009A3D1C
	v_cmp_u_f32_e64 s[38:39], v27, v27                         // 000000006248: D0480026 0002371B
	v_add3_u32 v28, v27, v31, 1                                // 000000006250: D1FF001C 02063F1B
	v_cndmask_b32_e64 v21, v28, v30, s[38:39]                  // 000000006258: D1000015 009A3D1C
	v_perm_b32 v25, v21, v20, s52                              // 000000006260: D1ED0019 00D22915
	ds_write_b64 v5, v[24:25] offset:1296                      // 000000006268: D89A0510 00001805
	v_mov_b32_e32 v24, v88                                     // 000000006270: 7E300358
	v_mov_b32_e32 v25, v92                                     // 000000006274: 7E32035C
	v_mov_b32_e32 v26, v96                                     // 000000006278: 7E340360
	v_mov_b32_e32 v27, v100                                    // 00000000627C: 7E360364
	v_cmp_u_f32_e64 s[38:39], v24, v24                         // 000000006280: D0480026 00023118
	v_add3_u32 v28, v24, v31, 1                                // 000000006288: D1FF001C 02063F18
	v_cndmask_b32_e64 v20, v28, v30, s[38:39]                  // 000000006290: D1000014 009A3D1C
	v_cmp_u_f32_e64 s[38:39], v25, v25                         // 000000006298: D0480026 00023319
	v_add3_u32 v28, v25, v31, 1                                // 0000000062A0: D1FF001C 02063F19
	v_cndmask_b32_e64 v21, v28, v30, s[38:39]                  // 0000000062A8: D1000015 009A3D1C
	v_perm_b32 v24, v21, v20, s52                              // 0000000062B0: D1ED0018 00D22915
	v_cmp_u_f32_e64 s[38:39], v26, v26                         // 0000000062B8: D0480026 0002351A
	v_add3_u32 v28, v26, v31, 1                                // 0000000062C0: D1FF001C 02063F1A
	v_cndmask_b32_e64 v20, v28, v30, s[38:39]                  // 0000000062C8: D1000014 009A3D1C
	v_cmp_u_f32_e64 s[38:39], v27, v27                         // 0000000062D0: D0480026 0002371B
	v_add3_u32 v28, v27, v31, 1                                // 0000000062D8: D1FF001C 02063F1B
	v_cndmask_b32_e64 v21, v28, v30, s[38:39]                  // 0000000062E0: D1000015 009A3D1C
	v_perm_b32 v25, v21, v20, s52                              // 0000000062E8: D1ED0019 00D22915
	ds_write_b64 v5, v[24:25] offset:2304                      // 0000000062F0: D89A0900 00001805
	v_mov_b32_e32 v24, v89                                     // 0000000062F8: 7E300359
	v_mov_b32_e32 v25, v93                                     // 0000000062FC: 7E32035D
	v_mov_b32_e32 v26, v97                                     // 000000006300: 7E340361
	v_mov_b32_e32 v27, v101                                    // 000000006304: 7E360365
	v_cmp_u_f32_e64 s[38:39], v24, v24                         // 000000006308: D0480026 00023118
	v_add3_u32 v28, v24, v31, 1                                // 000000006310: D1FF001C 02063F18
	v_cndmask_b32_e64 v20, v28, v30, s[38:39]                  // 000000006318: D1000014 009A3D1C
	v_cmp_u_f32_e64 s[38:39], v25, v25                         // 000000006320: D0480026 00023319
	v_add3_u32 v28, v25, v31, 1                                // 000000006328: D1FF001C 02063F19
	v_cndmask_b32_e64 v21, v28, v30, s[38:39]                  // 000000006330: D1000015 009A3D1C
	v_perm_b32 v24, v21, v20, s52                              // 000000006338: D1ED0018 00D22915
	v_cmp_u_f32_e64 s[38:39], v26, v26                         // 000000006340: D0480026 0002351A
	v_add3_u32 v28, v26, v31, 1                                // 000000006348: D1FF001C 02063F1A
	v_cndmask_b32_e64 v20, v28, v30, s[38:39]                  // 000000006350: D1000014 009A3D1C
	v_cmp_u_f32_e64 s[38:39], v27, v27                         // 000000006358: D0480026 0002371B
	v_add3_u32 v28, v27, v31, 1                                // 000000006360: D1FF001C 02063F1B
	v_cndmask_b32_e64 v21, v28, v30, s[38:39]                  // 000000006368: D1000015 009A3D1C
	v_perm_b32 v25, v21, v20, s52                              // 000000006370: D1ED0019 00D22915
	ds_write_b64 v5, v[24:25] offset:3456                      // 000000006378: D89A0D80 00001805
	v_mov_b32_e32 v24, v90                                     // 000000006380: 7E30035A
	v_mov_b32_e32 v25, v94                                     // 000000006384: 7E32035E
	v_mov_b32_e32 v26, v98                                     // 000000006388: 7E340362
	v_mov_b32_e32 v27, v102                                    // 00000000638C: 7E360366
	v_cmp_u_f32_e64 s[38:39], v24, v24                         // 000000006390: D0480026 00023118
	v_add3_u32 v28, v24, v31, 1                                // 000000006398: D1FF001C 02063F18
	v_cndmask_b32_e64 v20, v28, v30, s[38:39]                  // 0000000063A0: D1000014 009A3D1C
	v_cmp_u_f32_e64 s[38:39], v25, v25                         // 0000000063A8: D0480026 00023319
	v_add3_u32 v28, v25, v31, 1                                // 0000000063B0: D1FF001C 02063F19
	v_cndmask_b32_e64 v21, v28, v30, s[38:39]                  // 0000000063B8: D1000015 009A3D1C
	v_perm_b32 v24, v21, v20, s52                              // 0000000063C0: D1ED0018 00D22915
	v_cmp_u_f32_e64 s[38:39], v26, v26                         // 0000000063C8: D0480026 0002351A
	v_add3_u32 v28, v26, v31, 1                                // 0000000063D0: D1FF001C 02063F1A
	v_cndmask_b32_e64 v20, v28, v30, s[38:39]                  // 0000000063D8: D1000014 009A3D1C
	v_cmp_u_f32_e64 s[38:39], v27, v27                         // 0000000063E0: D0480026 0002371B
	v_add3_u32 v28, v27, v31, 1                                // 0000000063E8: D1FF001C 02063F1B
	v_cndmask_b32_e64 v21, v28, v30, s[38:39]                  // 0000000063F0: D1000015 009A3D1C
	v_perm_b32 v25, v21, v20, s52                              // 0000000063F8: D1ED0019 00D22915
	ds_write_b64 v5, v[24:25] offset:2448                      // 000000006400: D89A0990 00001805
	v_mov_b32_e32 v24, v91                                     // 000000006408: 7E30035B
	v_mov_b32_e32 v25, v95                                     // 00000000640C: 7E32035F
	v_mov_b32_e32 v26, v99                                     // 000000006410: 7E340363
	v_mov_b32_e32 v27, v103                                    // 000000006414: 7E360367
	v_cmp_u_f32_e64 s[38:39], v24, v24                         // 000000006418: D0480026 00023118
	v_add3_u32 v28, v24, v31, 1                                // 000000006420: D1FF001C 02063F18
	v_cndmask_b32_e64 v20, v28, v30, s[38:39]                  // 000000006428: D1000014 009A3D1C
	v_cmp_u_f32_e64 s[38:39], v25, v25                         // 000000006430: D0480026 00023319
	v_add3_u32 v28, v25, v31, 1                                // 000000006438: D1FF001C 02063F19
	v_cndmask_b32_e64 v21, v28, v30, s[38:39]                  // 000000006440: D1000015 009A3D1C
	v_perm_b32 v24, v21, v20, s52                              // 000000006448: D1ED0018 00D22915
	v_cmp_u_f32_e64 s[38:39], v26, v26                         // 000000006450: D0480026 0002351A
	v_add3_u32 v28, v26, v31, 1                                // 000000006458: D1FF001C 02063F1A
	v_cndmask_b32_e64 v20, v28, v30, s[38:39]                  // 000000006460: D1000014 009A3D1C
	v_cmp_u_f32_e64 s[38:39], v27, v27                         // 000000006468: D0480026 0002371B
	v_add3_u32 v28, v27, v31, 1                                // 000000006470: D1FF001C 02063F1B
	v_cndmask_b32_e64 v21, v28, v30, s[38:39]                  // 000000006478: D1000015 009A3D1C
	v_perm_b32 v25, v21, v20, s52                              // 000000006480: D1ED0019 00D22915
	ds_write_b64 v5, v[24:25] offset:3600                      // 000000006488: D89A0E10 00001805
	s_waitcnt lgkmcnt(4)                                       // 000000006490: BF8CC47F
	ds_read_b64 v[40:41], v4                                   // 000000006494: D8EC0000 28000004
	ds_read_b64 v[44:45], v4 offset:64                         // 00000000649C: D8EC0040 2C000004
	ds_read_b64 v[42:43], v4 offset:1152                       // 0000000064A4: D8EC0480 2A000004
	ds_read_b64 v[46:47], v4 offset:1216                       // 0000000064AC: D8EC04C0 2E000004
	s_waitcnt lgkmcnt(4)                                       // 0000000064B4: BF8CC47F
	ds_read_b64 v[48:49], v4 offset:2304                       // 0000000064B8: D8EC0900 30000004
	ds_read_b64 v[52:53], v4 offset:2368                       // 0000000064C0: D8EC0940 34000004
	ds_read_b64 v[50:51], v4 offset:3456                       // 0000000064C8: D8EC0D80 32000004
	ds_read_b64 v[54:55], v4 offset:3520                       // 0000000064D0: D8EC0DC0 36000004
	s_waitcnt lgkmcnt(0)                                       // 0000000064D8: BF8CC07F
	v_mov_b32_e32 v18, v19                                     // 0000000064DC: 7E240313
	buffer_store_dwordx4 v[40:43], v18, s[8:11], 0 offen offset:256// 0000000064E0: E07C1100 80022812
	buffer_store_dwordx4 v[48:51], v18, s[8:11], 0 offen offset:384// 0000000064E8: E07C1180 80023012
	v_add_u32_e32 v18, 0x2000, v18                             // 0000000064F0: 682424FF 00002000
	buffer_store_dwordx4 v[44:47], v18, s[8:11], 0 offen offset:256// 0000000064F8: E07C1100 80022C12
	buffer_store_dwordx4 v[52:55], v18, s[8:11], 0 offen offset:384// 000000006500: E07C1180 80023412
	v_add_u32_e32 v18, 0x2000, v18                             // 000000006508: 682424FF 00002000
	v_mov_b32_e32 v24, v104                                    // 000000006510: 7E300368
	v_mov_b32_e32 v25, v108                                    // 000000006514: 7E32036C
	v_mov_b32_e32 v26, v112                                    // 000000006518: 7E340370
	v_mov_b32_e32 v27, v116                                    // 00000000651C: 7E360374
	v_cmp_u_f32_e64 s[38:39], v24, v24                         // 000000006520: D0480026 00023118
	v_add3_u32 v28, v24, v31, 1                                // 000000006528: D1FF001C 02063F18
	v_cndmask_b32_e64 v20, v28, v30, s[38:39]                  // 000000006530: D1000014 009A3D1C
	v_cmp_u_f32_e64 s[38:39], v25, v25                         // 000000006538: D0480026 00023319
	v_add3_u32 v28, v25, v31, 1                                // 000000006540: D1FF001C 02063F19
	v_cndmask_b32_e64 v21, v28, v30, s[38:39]                  // 000000006548: D1000015 009A3D1C
	v_perm_b32 v24, v21, v20, s52                              // 000000006550: D1ED0018 00D22915
	v_cmp_u_f32_e64 s[38:39], v26, v26                         // 000000006558: D0480026 0002351A
	v_add3_u32 v28, v26, v31, 1                                // 000000006560: D1FF001C 02063F1A
	v_cndmask_b32_e64 v20, v28, v30, s[38:39]                  // 000000006568: D1000014 009A3D1C
	v_cmp_u_f32_e64 s[38:39], v27, v27                         // 000000006570: D0480026 0002371B
	v_add3_u32 v28, v27, v31, 1                                // 000000006578: D1FF001C 02063F1B
	v_cndmask_b32_e64 v21, v28, v30, s[38:39]                  // 000000006580: D1000015 009A3D1C
	v_perm_b32 v25, v21, v20, s52                              // 000000006588: D1ED0019 00D22915
	ds_write_b64 v5, v[24:25]                                  // 000000006590: D89A0000 00001805
	v_mov_b32_e32 v24, v105                                    // 000000006598: 7E300369
	v_mov_b32_e32 v25, v109                                    // 00000000659C: 7E32036D
	v_mov_b32_e32 v26, v113                                    // 0000000065A0: 7E340371
	v_mov_b32_e32 v27, v117                                    // 0000000065A4: 7E360375
	v_cmp_u_f32_e64 s[38:39], v24, v24                         // 0000000065A8: D0480026 00023118
	v_add3_u32 v28, v24, v31, 1                                // 0000000065B0: D1FF001C 02063F18
	v_cndmask_b32_e64 v20, v28, v30, s[38:39]                  // 0000000065B8: D1000014 009A3D1C
	v_cmp_u_f32_e64 s[38:39], v25, v25                         // 0000000065C0: D0480026 00023319
	v_add3_u32 v28, v25, v31, 1                                // 0000000065C8: D1FF001C 02063F19
	v_cndmask_b32_e64 v21, v28, v30, s[38:39]                  // 0000000065D0: D1000015 009A3D1C
	v_perm_b32 v24, v21, v20, s52                              // 0000000065D8: D1ED0018 00D22915
	v_cmp_u_f32_e64 s[38:39], v26, v26                         // 0000000065E0: D0480026 0002351A
	v_add3_u32 v28, v26, v31, 1                                // 0000000065E8: D1FF001C 02063F1A
	v_cndmask_b32_e64 v20, v28, v30, s[38:39]                  // 0000000065F0: D1000014 009A3D1C
	v_cmp_u_f32_e64 s[38:39], v27, v27                         // 0000000065F8: D0480026 0002371B
	v_add3_u32 v28, v27, v31, 1                                // 000000006600: D1FF001C 02063F1B
	v_cndmask_b32_e64 v21, v28, v30, s[38:39]                  // 000000006608: D1000015 009A3D1C
	v_perm_b32 v25, v21, v20, s52                              // 000000006610: D1ED0019 00D22915
	ds_write_b64 v5, v[24:25] offset:1152                      // 000000006618: D89A0480 00001805
	v_mov_b32_e32 v24, v106                                    // 000000006620: 7E30036A
	v_mov_b32_e32 v25, v110                                    // 000000006624: 7E32036E
	v_mov_b32_e32 v26, v114                                    // 000000006628: 7E340372
	v_mov_b32_e32 v27, v118                                    // 00000000662C: 7E360376
	v_cmp_u_f32_e64 s[38:39], v24, v24                         // 000000006630: D0480026 00023118
	v_add3_u32 v28, v24, v31, 1                                // 000000006638: D1FF001C 02063F18
	v_cndmask_b32_e64 v20, v28, v30, s[38:39]                  // 000000006640: D1000014 009A3D1C
	v_cmp_u_f32_e64 s[38:39], v25, v25                         // 000000006648: D0480026 00023319
	v_add3_u32 v28, v25, v31, 1                                // 000000006650: D1FF001C 02063F19
	v_cndmask_b32_e64 v21, v28, v30, s[38:39]                  // 000000006658: D1000015 009A3D1C
	v_perm_b32 v24, v21, v20, s52                              // 000000006660: D1ED0018 00D22915
	v_cmp_u_f32_e64 s[38:39], v26, v26                         // 000000006668: D0480026 0002351A
	v_add3_u32 v28, v26, v31, 1                                // 000000006670: D1FF001C 02063F1A
	v_cndmask_b32_e64 v20, v28, v30, s[38:39]                  // 000000006678: D1000014 009A3D1C
	v_cmp_u_f32_e64 s[38:39], v27, v27                         // 000000006680: D0480026 0002371B
	v_add3_u32 v28, v27, v31, 1                                // 000000006688: D1FF001C 02063F1B
	v_cndmask_b32_e64 v21, v28, v30, s[38:39]                  // 000000006690: D1000015 009A3D1C
	v_perm_b32 v25, v21, v20, s52                              // 000000006698: D1ED0019 00D22915
	ds_write_b64 v5, v[24:25] offset:144                       // 0000000066A0: D89A0090 00001805
	v_mov_b32_e32 v24, v107                                    // 0000000066A8: 7E30036B
	v_mov_b32_e32 v25, v111                                    // 0000000066AC: 7E32036F
	v_mov_b32_e32 v26, v115                                    // 0000000066B0: 7E340373
	v_mov_b32_e32 v27, v119                                    // 0000000066B4: 7E360377
	v_cmp_u_f32_e64 s[38:39], v24, v24                         // 0000000066B8: D0480026 00023118
	v_add3_u32 v28, v24, v31, 1                                // 0000000066C0: D1FF001C 02063F18
	v_cndmask_b32_e64 v20, v28, v30, s[38:39]                  // 0000000066C8: D1000014 009A3D1C
	v_cmp_u_f32_e64 s[38:39], v25, v25                         // 0000000066D0: D0480026 00023319
	v_add3_u32 v28, v25, v31, 1                                // 0000000066D8: D1FF001C 02063F19
	v_cndmask_b32_e64 v21, v28, v30, s[38:39]                  // 0000000066E0: D1000015 009A3D1C
	v_perm_b32 v24, v21, v20, s52                              // 0000000066E8: D1ED0018 00D22915
	v_cmp_u_f32_e64 s[38:39], v26, v26                         // 0000000066F0: D0480026 0002351A
	v_add3_u32 v28, v26, v31, 1                                // 0000000066F8: D1FF001C 02063F1A
	v_cndmask_b32_e64 v20, v28, v30, s[38:39]                  // 000000006700: D1000014 009A3D1C
	v_cmp_u_f32_e64 s[38:39], v27, v27                         // 000000006708: D0480026 0002371B
	v_add3_u32 v28, v27, v31, 1                                // 000000006710: D1FF001C 02063F1B
	v_cndmask_b32_e64 v21, v28, v30, s[38:39]                  // 000000006718: D1000015 009A3D1C
	v_perm_b32 v25, v21, v20, s52                              // 000000006720: D1ED0019 00D22915
	ds_write_b64 v5, v[24:25] offset:1296                      // 000000006728: D89A0510 00001805
	v_mov_b32_e32 v24, v120                                    // 000000006730: 7E300378
	v_mov_b32_e32 v25, v124                                    // 000000006734: 7E32037C
	v_mov_b32_e32 v26, v128                                    // 000000006738: 7E340380
	v_mov_b32_e32 v27, v132                                    // 00000000673C: 7E360384
	v_cmp_u_f32_e64 s[38:39], v24, v24                         // 000000006740: D0480026 00023118
	v_add3_u32 v28, v24, v31, 1                                // 000000006748: D1FF001C 02063F18
	v_cndmask_b32_e64 v20, v28, v30, s[38:39]                  // 000000006750: D1000014 009A3D1C
	v_cmp_u_f32_e64 s[38:39], v25, v25                         // 000000006758: D0480026 00023319
	v_add3_u32 v28, v25, v31, 1                                // 000000006760: D1FF001C 02063F19
	v_cndmask_b32_e64 v21, v28, v30, s[38:39]                  // 000000006768: D1000015 009A3D1C
	v_perm_b32 v24, v21, v20, s52                              // 000000006770: D1ED0018 00D22915
	v_cmp_u_f32_e64 s[38:39], v26, v26                         // 000000006778: D0480026 0002351A
	v_add3_u32 v28, v26, v31, 1                                // 000000006780: D1FF001C 02063F1A
	v_cndmask_b32_e64 v20, v28, v30, s[38:39]                  // 000000006788: D1000014 009A3D1C
	v_cmp_u_f32_e64 s[38:39], v27, v27                         // 000000006790: D0480026 0002371B
	v_add3_u32 v28, v27, v31, 1                                // 000000006798: D1FF001C 02063F1B
	v_cndmask_b32_e64 v21, v28, v30, s[38:39]                  // 0000000067A0: D1000015 009A3D1C
	v_perm_b32 v25, v21, v20, s52                              // 0000000067A8: D1ED0019 00D22915
	ds_write_b64 v5, v[24:25] offset:2304                      // 0000000067B0: D89A0900 00001805
	v_mov_b32_e32 v24, v121                                    // 0000000067B8: 7E300379
	v_mov_b32_e32 v25, v125                                    // 0000000067BC: 7E32037D
	v_mov_b32_e32 v26, v129                                    // 0000000067C0: 7E340381
	v_mov_b32_e32 v27, v133                                    // 0000000067C4: 7E360385
	v_cmp_u_f32_e64 s[38:39], v24, v24                         // 0000000067C8: D0480026 00023118
	v_add3_u32 v28, v24, v31, 1                                // 0000000067D0: D1FF001C 02063F18
	v_cndmask_b32_e64 v20, v28, v30, s[38:39]                  // 0000000067D8: D1000014 009A3D1C
	v_cmp_u_f32_e64 s[38:39], v25, v25                         // 0000000067E0: D0480026 00023319
	v_add3_u32 v28, v25, v31, 1                                // 0000000067E8: D1FF001C 02063F19
	v_cndmask_b32_e64 v21, v28, v30, s[38:39]                  // 0000000067F0: D1000015 009A3D1C
	v_perm_b32 v24, v21, v20, s52                              // 0000000067F8: D1ED0018 00D22915
	v_cmp_u_f32_e64 s[38:39], v26, v26                         // 000000006800: D0480026 0002351A
	v_add3_u32 v28, v26, v31, 1                                // 000000006808: D1FF001C 02063F1A
	v_cndmask_b32_e64 v20, v28, v30, s[38:39]                  // 000000006810: D1000014 009A3D1C
	v_cmp_u_f32_e64 s[38:39], v27, v27                         // 000000006818: D0480026 0002371B
	v_add3_u32 v28, v27, v31, 1                                // 000000006820: D1FF001C 02063F1B
	v_cndmask_b32_e64 v21, v28, v30, s[38:39]                  // 000000006828: D1000015 009A3D1C
	v_perm_b32 v25, v21, v20, s52                              // 000000006830: D1ED0019 00D22915
	ds_write_b64 v5, v[24:25] offset:3456                      // 000000006838: D89A0D80 00001805
	v_mov_b32_e32 v24, v122                                    // 000000006840: 7E30037A
	v_mov_b32_e32 v25, v126                                    // 000000006844: 7E32037E
	v_mov_b32_e32 v26, v130                                    // 000000006848: 7E340382
	v_mov_b32_e32 v27, v134                                    // 00000000684C: 7E360386
	v_cmp_u_f32_e64 s[38:39], v24, v24                         // 000000006850: D0480026 00023118
	v_add3_u32 v28, v24, v31, 1                                // 000000006858: D1FF001C 02063F18
	v_cndmask_b32_e64 v20, v28, v30, s[38:39]                  // 000000006860: D1000014 009A3D1C
	v_cmp_u_f32_e64 s[38:39], v25, v25                         // 000000006868: D0480026 00023319
	v_add3_u32 v28, v25, v31, 1                                // 000000006870: D1FF001C 02063F19
	v_cndmask_b32_e64 v21, v28, v30, s[38:39]                  // 000000006878: D1000015 009A3D1C
	v_perm_b32 v24, v21, v20, s52                              // 000000006880: D1ED0018 00D22915
	v_cmp_u_f32_e64 s[38:39], v26, v26                         // 000000006888: D0480026 0002351A
	v_add3_u32 v28, v26, v31, 1                                // 000000006890: D1FF001C 02063F1A
	v_cndmask_b32_e64 v20, v28, v30, s[38:39]                  // 000000006898: D1000014 009A3D1C
	v_cmp_u_f32_e64 s[38:39], v27, v27                         // 0000000068A0: D0480026 0002371B
	v_add3_u32 v28, v27, v31, 1                                // 0000000068A8: D1FF001C 02063F1B
	v_cndmask_b32_e64 v21, v28, v30, s[38:39]                  // 0000000068B0: D1000015 009A3D1C
	v_perm_b32 v25, v21, v20, s52                              // 0000000068B8: D1ED0019 00D22915
	ds_write_b64 v5, v[24:25] offset:2448                      // 0000000068C0: D89A0990 00001805
	v_mov_b32_e32 v24, v123                                    // 0000000068C8: 7E30037B
	v_mov_b32_e32 v25, v127                                    // 0000000068CC: 7E32037F
	v_mov_b32_e32 v26, v131                                    // 0000000068D0: 7E340383
	v_mov_b32_e32 v27, v135                                    // 0000000068D4: 7E360387
	v_cmp_u_f32_e64 s[38:39], v24, v24                         // 0000000068D8: D0480026 00023118
	v_add3_u32 v28, v24, v31, 1                                // 0000000068E0: D1FF001C 02063F18
	v_cndmask_b32_e64 v20, v28, v30, s[38:39]                  // 0000000068E8: D1000014 009A3D1C
	v_cmp_u_f32_e64 s[38:39], v25, v25                         // 0000000068F0: D0480026 00023319
	v_add3_u32 v28, v25, v31, 1                                // 0000000068F8: D1FF001C 02063F19
	v_cndmask_b32_e64 v21, v28, v30, s[38:39]                  // 000000006900: D1000015 009A3D1C
	v_perm_b32 v24, v21, v20, s52                              // 000000006908: D1ED0018 00D22915
	v_cmp_u_f32_e64 s[38:39], v26, v26                         // 000000006910: D0480026 0002351A
	v_add3_u32 v28, v26, v31, 1                                // 000000006918: D1FF001C 02063F1A
	v_cndmask_b32_e64 v20, v28, v30, s[38:39]                  // 000000006920: D1000014 009A3D1C
	v_cmp_u_f32_e64 s[38:39], v27, v27                         // 000000006928: D0480026 0002371B
	v_add3_u32 v28, v27, v31, 1                                // 000000006930: D1FF001C 02063F1B
	v_cndmask_b32_e64 v21, v28, v30, s[38:39]                  // 000000006938: D1000015 009A3D1C
	v_perm_b32 v25, v21, v20, s52                              // 000000006940: D1ED0019 00D22915
	ds_write_b64 v5, v[24:25] offset:3600                      // 000000006948: D89A0E10 00001805
	s_waitcnt lgkmcnt(4)                                       // 000000006950: BF8CC47F
	ds_read_b64 v[40:41], v4                                   // 000000006954: D8EC0000 28000004
	ds_read_b64 v[44:45], v4 offset:64                         // 00000000695C: D8EC0040 2C000004
	ds_read_b64 v[42:43], v4 offset:1152                       // 000000006964: D8EC0480 2A000004
	ds_read_b64 v[46:47], v4 offset:1216                       // 00000000696C: D8EC04C0 2E000004
	s_waitcnt lgkmcnt(4)                                       // 000000006974: BF8CC47F
	ds_read_b64 v[48:49], v4 offset:2304                       // 000000006978: D8EC0900 30000004
	ds_read_b64 v[52:53], v4 offset:2368                       // 000000006980: D8EC0940 34000004
	ds_read_b64 v[50:51], v4 offset:3456                       // 000000006988: D8EC0D80 32000004
	ds_read_b64 v[54:55], v4 offset:3520                       // 000000006990: D8EC0DC0 36000004
	s_waitcnt lgkmcnt(0)                                       // 000000006998: BF8CC07F
	v_mov_b32_e32 v18, v19                                     // 00000000699C: 7E240313
	buffer_store_dwordx4 v[40:43], v18, s[8:11], 0 offen offset:512// 0000000069A0: E07C1200 80022812
	buffer_store_dwordx4 v[48:51], v18, s[8:11], 0 offen offset:640// 0000000069A8: E07C1280 80023012
	v_add_u32_e32 v18, 0x2000, v18                             // 0000000069B0: 682424FF 00002000
	buffer_store_dwordx4 v[44:47], v18, s[8:11], 0 offen offset:512// 0000000069B8: E07C1200 80022C12
	buffer_store_dwordx4 v[52:55], v18, s[8:11], 0 offen offset:640// 0000000069C0: E07C1280 80023412
	v_add_u32_e32 v18, 0x2000, v18                             // 0000000069C8: 682424FF 00002000
	v_mov_b32_e32 v24, v136                                    // 0000000069D0: 7E300388
	v_mov_b32_e32 v25, v140                                    // 0000000069D4: 7E32038C
	v_mov_b32_e32 v26, v144                                    // 0000000069D8: 7E340390
	v_mov_b32_e32 v27, v148                                    // 0000000069DC: 7E360394
	v_cmp_u_f32_e64 s[38:39], v24, v24                         // 0000000069E0: D0480026 00023118
	v_add3_u32 v28, v24, v31, 1                                // 0000000069E8: D1FF001C 02063F18
	v_cndmask_b32_e64 v20, v28, v30, s[38:39]                  // 0000000069F0: D1000014 009A3D1C
	v_cmp_u_f32_e64 s[38:39], v25, v25                         // 0000000069F8: D0480026 00023319
	v_add3_u32 v28, v25, v31, 1                                // 000000006A00: D1FF001C 02063F19
	v_cndmask_b32_e64 v21, v28, v30, s[38:39]                  // 000000006A08: D1000015 009A3D1C
	v_perm_b32 v24, v21, v20, s52                              // 000000006A10: D1ED0018 00D22915
	v_cmp_u_f32_e64 s[38:39], v26, v26                         // 000000006A18: D0480026 0002351A
	v_add3_u32 v28, v26, v31, 1                                // 000000006A20: D1FF001C 02063F1A
	v_cndmask_b32_e64 v20, v28, v30, s[38:39]                  // 000000006A28: D1000014 009A3D1C
	v_cmp_u_f32_e64 s[38:39], v27, v27                         // 000000006A30: D0480026 0002371B
	v_add3_u32 v28, v27, v31, 1                                // 000000006A38: D1FF001C 02063F1B
	v_cndmask_b32_e64 v21, v28, v30, s[38:39]                  // 000000006A40: D1000015 009A3D1C
	v_perm_b32 v25, v21, v20, s52                              // 000000006A48: D1ED0019 00D22915
	ds_write_b64 v5, v[24:25]                                  // 000000006A50: D89A0000 00001805
	v_mov_b32_e32 v24, v137                                    // 000000006A58: 7E300389
	v_mov_b32_e32 v25, v141                                    // 000000006A5C: 7E32038D
	v_mov_b32_e32 v26, v145                                    // 000000006A60: 7E340391
	v_mov_b32_e32 v27, v149                                    // 000000006A64: 7E360395
	v_cmp_u_f32_e64 s[38:39], v24, v24                         // 000000006A68: D0480026 00023118
	v_add3_u32 v28, v24, v31, 1                                // 000000006A70: D1FF001C 02063F18
	v_cndmask_b32_e64 v20, v28, v30, s[38:39]                  // 000000006A78: D1000014 009A3D1C
	v_cmp_u_f32_e64 s[38:39], v25, v25                         // 000000006A80: D0480026 00023319
	v_add3_u32 v28, v25, v31, 1                                // 000000006A88: D1FF001C 02063F19
	v_cndmask_b32_e64 v21, v28, v30, s[38:39]                  // 000000006A90: D1000015 009A3D1C
	v_perm_b32 v24, v21, v20, s52                              // 000000006A98: D1ED0018 00D22915
	v_cmp_u_f32_e64 s[38:39], v26, v26                         // 000000006AA0: D0480026 0002351A
	v_add3_u32 v28, v26, v31, 1                                // 000000006AA8: D1FF001C 02063F1A
	v_cndmask_b32_e64 v20, v28, v30, s[38:39]                  // 000000006AB0: D1000014 009A3D1C
	v_cmp_u_f32_e64 s[38:39], v27, v27                         // 000000006AB8: D0480026 0002371B
	v_add3_u32 v28, v27, v31, 1                                // 000000006AC0: D1FF001C 02063F1B
	v_cndmask_b32_e64 v21, v28, v30, s[38:39]                  // 000000006AC8: D1000015 009A3D1C
	v_perm_b32 v25, v21, v20, s52                              // 000000006AD0: D1ED0019 00D22915
	ds_write_b64 v5, v[24:25] offset:1152                      // 000000006AD8: D89A0480 00001805
	v_mov_b32_e32 v24, v138                                    // 000000006AE0: 7E30038A
	v_mov_b32_e32 v25, v142                                    // 000000006AE4: 7E32038E
	v_mov_b32_e32 v26, v146                                    // 000000006AE8: 7E340392
	v_mov_b32_e32 v27, v150                                    // 000000006AEC: 7E360396
	v_cmp_u_f32_e64 s[38:39], v24, v24                         // 000000006AF0: D0480026 00023118
	v_add3_u32 v28, v24, v31, 1                                // 000000006AF8: D1FF001C 02063F18
	v_cndmask_b32_e64 v20, v28, v30, s[38:39]                  // 000000006B00: D1000014 009A3D1C
	v_cmp_u_f32_e64 s[38:39], v25, v25                         // 000000006B08: D0480026 00023319
	v_add3_u32 v28, v25, v31, 1                                // 000000006B10: D1FF001C 02063F19
	v_cndmask_b32_e64 v21, v28, v30, s[38:39]                  // 000000006B18: D1000015 009A3D1C
	v_perm_b32 v24, v21, v20, s52                              // 000000006B20: D1ED0018 00D22915
	v_cmp_u_f32_e64 s[38:39], v26, v26                         // 000000006B28: D0480026 0002351A
	v_add3_u32 v28, v26, v31, 1                                // 000000006B30: D1FF001C 02063F1A
	v_cndmask_b32_e64 v20, v28, v30, s[38:39]                  // 000000006B38: D1000014 009A3D1C
	v_cmp_u_f32_e64 s[38:39], v27, v27                         // 000000006B40: D0480026 0002371B
	v_add3_u32 v28, v27, v31, 1                                // 000000006B48: D1FF001C 02063F1B
	v_cndmask_b32_e64 v21, v28, v30, s[38:39]                  // 000000006B50: D1000015 009A3D1C
	v_perm_b32 v25, v21, v20, s52                              // 000000006B58: D1ED0019 00D22915
	ds_write_b64 v5, v[24:25] offset:144                       // 000000006B60: D89A0090 00001805
	v_mov_b32_e32 v24, v139                                    // 000000006B68: 7E30038B
	v_mov_b32_e32 v25, v143                                    // 000000006B6C: 7E32038F
	v_mov_b32_e32 v26, v147                                    // 000000006B70: 7E340393
	v_mov_b32_e32 v27, v151                                    // 000000006B74: 7E360397
	v_cmp_u_f32_e64 s[38:39], v24, v24                         // 000000006B78: D0480026 00023118
	v_add3_u32 v28, v24, v31, 1                                // 000000006B80: D1FF001C 02063F18
	v_cndmask_b32_e64 v20, v28, v30, s[38:39]                  // 000000006B88: D1000014 009A3D1C
	v_cmp_u_f32_e64 s[38:39], v25, v25                         // 000000006B90: D0480026 00023319
	v_add3_u32 v28, v25, v31, 1                                // 000000006B98: D1FF001C 02063F19
	v_cndmask_b32_e64 v21, v28, v30, s[38:39]                  // 000000006BA0: D1000015 009A3D1C
	v_perm_b32 v24, v21, v20, s52                              // 000000006BA8: D1ED0018 00D22915
	v_cmp_u_f32_e64 s[38:39], v26, v26                         // 000000006BB0: D0480026 0002351A
	v_add3_u32 v28, v26, v31, 1                                // 000000006BB8: D1FF001C 02063F1A
	v_cndmask_b32_e64 v20, v28, v30, s[38:39]                  // 000000006BC0: D1000014 009A3D1C
	v_cmp_u_f32_e64 s[38:39], v27, v27                         // 000000006BC8: D0480026 0002371B
	v_add3_u32 v28, v27, v31, 1                                // 000000006BD0: D1FF001C 02063F1B
	v_cndmask_b32_e64 v21, v28, v30, s[38:39]                  // 000000006BD8: D1000015 009A3D1C
	v_perm_b32 v25, v21, v20, s52                              // 000000006BE0: D1ED0019 00D22915
	ds_write_b64 v5, v[24:25] offset:1296                      // 000000006BE8: D89A0510 00001805
	v_mov_b32_e32 v24, v152                                    // 000000006BF0: 7E300398
	v_mov_b32_e32 v25, v156                                    // 000000006BF4: 7E32039C
	v_mov_b32_e32 v26, v160                                    // 000000006BF8: 7E3403A0
	v_mov_b32_e32 v27, v164                                    // 000000006BFC: 7E3603A4
	v_cmp_u_f32_e64 s[38:39], v24, v24                         // 000000006C00: D0480026 00023118
	v_add3_u32 v28, v24, v31, 1                                // 000000006C08: D1FF001C 02063F18
	v_cndmask_b32_e64 v20, v28, v30, s[38:39]                  // 000000006C10: D1000014 009A3D1C
	v_cmp_u_f32_e64 s[38:39], v25, v25                         // 000000006C18: D0480026 00023319
	v_add3_u32 v28, v25, v31, 1                                // 000000006C20: D1FF001C 02063F19
	v_cndmask_b32_e64 v21, v28, v30, s[38:39]                  // 000000006C28: D1000015 009A3D1C
	v_perm_b32 v24, v21, v20, s52                              // 000000006C30: D1ED0018 00D22915
	v_cmp_u_f32_e64 s[38:39], v26, v26                         // 000000006C38: D0480026 0002351A
	v_add3_u32 v28, v26, v31, 1                                // 000000006C40: D1FF001C 02063F1A
	v_cndmask_b32_e64 v20, v28, v30, s[38:39]                  // 000000006C48: D1000014 009A3D1C
	v_cmp_u_f32_e64 s[38:39], v27, v27                         // 000000006C50: D0480026 0002371B
	v_add3_u32 v28, v27, v31, 1                                // 000000006C58: D1FF001C 02063F1B
	v_cndmask_b32_e64 v21, v28, v30, s[38:39]                  // 000000006C60: D1000015 009A3D1C
	v_perm_b32 v25, v21, v20, s52                              // 000000006C68: D1ED0019 00D22915
	ds_write_b64 v5, v[24:25] offset:2304                      // 000000006C70: D89A0900 00001805
	v_mov_b32_e32 v24, v153                                    // 000000006C78: 7E300399
	v_mov_b32_e32 v25, v157                                    // 000000006C7C: 7E32039D
	v_mov_b32_e32 v26, v161                                    // 000000006C80: 7E3403A1
	v_mov_b32_e32 v27, v165                                    // 000000006C84: 7E3603A5
	v_cmp_u_f32_e64 s[38:39], v24, v24                         // 000000006C88: D0480026 00023118
	v_add3_u32 v28, v24, v31, 1                                // 000000006C90: D1FF001C 02063F18
	v_cndmask_b32_e64 v20, v28, v30, s[38:39]                  // 000000006C98: D1000014 009A3D1C
	v_cmp_u_f32_e64 s[38:39], v25, v25                         // 000000006CA0: D0480026 00023319
	v_add3_u32 v28, v25, v31, 1                                // 000000006CA8: D1FF001C 02063F19
	v_cndmask_b32_e64 v21, v28, v30, s[38:39]                  // 000000006CB0: D1000015 009A3D1C
	v_perm_b32 v24, v21, v20, s52                              // 000000006CB8: D1ED0018 00D22915
	v_cmp_u_f32_e64 s[38:39], v26, v26                         // 000000006CC0: D0480026 0002351A
	v_add3_u32 v28, v26, v31, 1                                // 000000006CC8: D1FF001C 02063F1A
	v_cndmask_b32_e64 v20, v28, v30, s[38:39]                  // 000000006CD0: D1000014 009A3D1C
	v_cmp_u_f32_e64 s[38:39], v27, v27                         // 000000006CD8: D0480026 0002371B
	v_add3_u32 v28, v27, v31, 1                                // 000000006CE0: D1FF001C 02063F1B
	v_cndmask_b32_e64 v21, v28, v30, s[38:39]                  // 000000006CE8: D1000015 009A3D1C
	v_perm_b32 v25, v21, v20, s52                              // 000000006CF0: D1ED0019 00D22915
	ds_write_b64 v5, v[24:25] offset:3456                      // 000000006CF8: D89A0D80 00001805
	v_mov_b32_e32 v24, v154                                    // 000000006D00: 7E30039A
	v_mov_b32_e32 v25, v158                                    // 000000006D04: 7E32039E
	v_mov_b32_e32 v26, v162                                    // 000000006D08: 7E3403A2
	v_mov_b32_e32 v27, v166                                    // 000000006D0C: 7E3603A6
	v_cmp_u_f32_e64 s[38:39], v24, v24                         // 000000006D10: D0480026 00023118
	v_add3_u32 v28, v24, v31, 1                                // 000000006D18: D1FF001C 02063F18
	v_cndmask_b32_e64 v20, v28, v30, s[38:39]                  // 000000006D20: D1000014 009A3D1C
	v_cmp_u_f32_e64 s[38:39], v25, v25                         // 000000006D28: D0480026 00023319
	v_add3_u32 v28, v25, v31, 1                                // 000000006D30: D1FF001C 02063F19
	v_cndmask_b32_e64 v21, v28, v30, s[38:39]                  // 000000006D38: D1000015 009A3D1C
	v_perm_b32 v24, v21, v20, s52                              // 000000006D40: D1ED0018 00D22915
	v_cmp_u_f32_e64 s[38:39], v26, v26                         // 000000006D48: D0480026 0002351A
	v_add3_u32 v28, v26, v31, 1                                // 000000006D50: D1FF001C 02063F1A
	v_cndmask_b32_e64 v20, v28, v30, s[38:39]                  // 000000006D58: D1000014 009A3D1C
	v_cmp_u_f32_e64 s[38:39], v27, v27                         // 000000006D60: D0480026 0002371B
	v_add3_u32 v28, v27, v31, 1                                // 000000006D68: D1FF001C 02063F1B
	v_cndmask_b32_e64 v21, v28, v30, s[38:39]                  // 000000006D70: D1000015 009A3D1C
	v_perm_b32 v25, v21, v20, s52                              // 000000006D78: D1ED0019 00D22915
	ds_write_b64 v5, v[24:25] offset:2448                      // 000000006D80: D89A0990 00001805
	v_mov_b32_e32 v24, v155                                    // 000000006D88: 7E30039B
	v_mov_b32_e32 v25, v159                                    // 000000006D8C: 7E32039F
	v_mov_b32_e32 v26, v163                                    // 000000006D90: 7E3403A3
	v_mov_b32_e32 v27, v167                                    // 000000006D94: 7E3603A7
	v_cmp_u_f32_e64 s[38:39], v24, v24                         // 000000006D98: D0480026 00023118
	v_add3_u32 v28, v24, v31, 1                                // 000000006DA0: D1FF001C 02063F18
	v_cndmask_b32_e64 v20, v28, v30, s[38:39]                  // 000000006DA8: D1000014 009A3D1C
	v_cmp_u_f32_e64 s[38:39], v25, v25                         // 000000006DB0: D0480026 00023319
	v_add3_u32 v28, v25, v31, 1                                // 000000006DB8: D1FF001C 02063F19
	v_cndmask_b32_e64 v21, v28, v30, s[38:39]                  // 000000006DC0: D1000015 009A3D1C
	v_perm_b32 v24, v21, v20, s52                              // 000000006DC8: D1ED0018 00D22915
	v_cmp_u_f32_e64 s[38:39], v26, v26                         // 000000006DD0: D0480026 0002351A
	v_add3_u32 v28, v26, v31, 1                                // 000000006DD8: D1FF001C 02063F1A
	v_cndmask_b32_e64 v20, v28, v30, s[38:39]                  // 000000006DE0: D1000014 009A3D1C
	v_cmp_u_f32_e64 s[38:39], v27, v27                         // 000000006DE8: D0480026 0002371B
	v_add3_u32 v28, v27, v31, 1                                // 000000006DF0: D1FF001C 02063F1B
	v_cndmask_b32_e64 v21, v28, v30, s[38:39]                  // 000000006DF8: D1000015 009A3D1C
	v_perm_b32 v25, v21, v20, s52                              // 000000006E00: D1ED0019 00D22915
	ds_write_b64 v5, v[24:25] offset:3600                      // 000000006E08: D89A0E10 00001805
	s_waitcnt lgkmcnt(4)                                       // 000000006E10: BF8CC47F
	ds_read_b64 v[40:41], v4                                   // 000000006E14: D8EC0000 28000004
	ds_read_b64 v[44:45], v4 offset:64                         // 000000006E1C: D8EC0040 2C000004
	ds_read_b64 v[42:43], v4 offset:1152                       // 000000006E24: D8EC0480 2A000004
	ds_read_b64 v[46:47], v4 offset:1216                       // 000000006E2C: D8EC04C0 2E000004
	s_waitcnt lgkmcnt(4)                                       // 000000006E34: BF8CC47F
	ds_read_b64 v[48:49], v4 offset:2304                       // 000000006E38: D8EC0900 30000004
	ds_read_b64 v[52:53], v4 offset:2368                       // 000000006E40: D8EC0940 34000004
	ds_read_b64 v[50:51], v4 offset:3456                       // 000000006E48: D8EC0D80 32000004
	ds_read_b64 v[54:55], v4 offset:3520                       // 000000006E50: D8EC0DC0 36000004
	s_waitcnt lgkmcnt(0)                                       // 000000006E58: BF8CC07F
	v_mov_b32_e32 v18, v19                                     // 000000006E5C: 7E240313
	buffer_store_dwordx4 v[40:43], v18, s[8:11], 0 offen offset:768// 000000006E60: E07C1300 80022812
	buffer_store_dwordx4 v[48:51], v18, s[8:11], 0 offen offset:896// 000000006E68: E07C1380 80023012
	v_add_u32_e32 v18, 0x2000, v18                             // 000000006E70: 682424FF 00002000
	buffer_store_dwordx4 v[44:47], v18, s[8:11], 0 offen offset:768// 000000006E78: E07C1300 80022C12
	buffer_store_dwordx4 v[52:55], v18, s[8:11], 0 offen offset:896// 000000006E80: E07C1380 80023412
	v_add_u32_e32 v18, 0x2000, v18                             // 000000006E88: 682424FF 00002000
	s_branch label_1960                                        // 000000006E90: BF8201BB

0000000000006e94 <label_17A5>:
	s_mul_i32 s76, s67, s75                                    // 000000006E94: 924C4B43
	s_add_u32 s56, s80, s79                                    // 000000006E98: 80384F50
	v_mov_b32_e32 v20, s56                                     // 000000006E9C: 7E280238
	v_mul_lo_u32 v21, s76, v20                                 // 000000006EA0: D2850015 0002284C
	v_mul_hi_u32 v22, s76, v20                                 // 000000006EA8: D2860016 0002284C
	s_nop 2                                                    // 000000006EB0: BF800002
	v_readfirstlane_b32 s56, v21                               // 000000006EB4: 7E700515
	v_readfirstlane_b32 s57, v22                               // 000000006EB8: 7E720516
	s_nop 4                                                    // 000000006EBC: BF800004
	s_add_u32 s8, s56, s8                                      // 000000006EC0: 80080838
	s_addc_u32 s9, s57, s9                                     // 000000006EC4: 82090939
	s_sub_u32 s56, s81, s80                                    // 000000006EC8: 80B85051
	s_mul_i32 s56, s56, s76                                    // 000000006ECC: 92384C38
	s_mov_b32 s10, s56                                         // 000000006ED0: BE8A0038
	v_and_b32_e32 v20, 15, v0                                  // 000000006ED4: 2628008F
	v_lshlrev_b32_e32 v18, 4, v20                              // 000000006ED8: 24242884
	v_lshrrev_b32_e32 v20, 4, v0                               // 000000006EDC: 20280084
	v_mul_i32_i24_e32 v20, 0x800, v20                          // 000000006EE0: 0C2828FF 00000800
	v_add_u32_e32 v18, v18, v20                                // 000000006EE8: 68242912
	s_mul_i32 s56, s4, s75                                     // 000000006EEC: 92384B04
	v_add_u32_e64 v18, v18, s56                                // 000000006EF0: D1340012 00007112
	s_mul_i32 s56, s7, s76                                     // 000000006EF8: 92384C07
	v_add_u32_e64 v18, v18, s56                                // 000000006EFC: D1340012 00007112
	v_mov_b32_e32 v19, v18                                     // 000000006F04: 7E260312
	s_mul_i32 s58, 4, s65                                      // 000000006F08: 923A4184
	s_mul_i32 s77, s67, s58                                    // 000000006F0C: 924D3A43
	s_add_u32 s56, s80, s79                                    // 000000006F10: 80384F50
	s_mul_i32 s56, s56, s77                                    // 000000006F14: 92384D38
	s_add_u32 s12, s56, s12                                    // 000000006F18: 800C0C38
	s_addc_u32 s13, 0, s13                                     // 000000006F1C: 820D0D80
	s_sub_u32 s56, s81, s80                                    // 000000006F20: 80B85051
	s_mul_i32 s56, s56, s77                                    // 000000006F24: 92384D38
	s_mov_b32 s14, s56                                         // 000000006F28: BE8E0038
	v_and_b32_e32 v26, 15, v0                                  // 000000006F2C: 2634008F
	v_lshlrev_b32_e32 v26, 2, v26                              // 000000006F30: 24343482
	s_mul_i32 s56, s4, s58                                     // 000000006F34: 92383A04
	v_add_u32_e64 v26, v26, s56                                // 000000006F38: D134001A 0000711A
	s_mul_i32 s56, s7, s77                                     // 000000006F40: 92384D07
	v_add_u32_e64 v26, v26, s56                                // 000000006F44: D134001A 0000711A
	s_waitcnt vmcnt(0) lgkmcnt(0)                              // 000000006F4C: BF8C0070
	s_barrier                                                  // 000000006F50: BF8A0000
	v_lshlrev_b32_e32 v5, 2, v0                                // 000000006F54: 240A0082
	s_mul_i32 s56, s7, 0x840                                   // 000000006F58: 9238FF07 00000840
	v_add_u32_e32 v5, s56, v5                                  // 000000006F60: 680A0A38
	v_lshlrev_b32_e32 v5, 2, v5                                // 000000006F64: 240A0A82
	v_lshrrev_b32_e32 v20, 4, v0                               // 000000006F68: 20280084
	v_mul_i32_i24_e32 v4, 4, v20                               // 000000006F6C: 0C082884
	v_and_b32_e32 v20, 3, v0                                   // 000000006F70: 26280083
	v_mul_i32_i24_e32 v20, 0x108, v20                          // 000000006F74: 0C2828FF 00000108
	v_add_u32_e32 v4, v20, v4                                  // 000000006F7C: 68080914
	v_and_b32_e32 v20, 15, v0                                  // 000000006F80: 2628008F
	v_lshrrev_b32_e32 v20, 2, v20                              // 000000006F84: 20282882
	v_mul_i32_i24_e32 v20, 64, v20                             // 000000006F88: 0C2828C0
	v_add_u32_e32 v4, v20, v4                                  // 000000006F8C: 68080914
	s_mul_i32 s56, s7, 0x840                                   // 000000006F90: 9238FF07 00000840
	v_add_u32_e32 v4, s56, v4                                  // 000000006F98: 68080838
	v_lshlrev_b32_e32 v4, 2, v4                                // 000000006F9C: 24080882
	s_mul_i32 s56, 0, s76                                      // 000000006FA0: 92384C80
	v_add_u32_e64 v19, v19, s56                                // 000000006FA4: D1340013 00007113
	v_mov_b32_e32 v20, v40                                     // 000000006FAC: 7E280328
	v_mov_b32_e32 v21, v44                                     // 000000006FB0: 7E2A032C
	v_mov_b32_e32 v22, v48                                     // 000000006FB4: 7E2C0330
	v_mov_b32_e32 v23, v52                                     // 000000006FB8: 7E2E0334
	ds_write_b128 v5, v[20:23]                                 // 000000006FBC: D9BE0000 00001405
	v_mov_b32_e32 v20, v41                                     // 000000006FC4: 7E280329
	v_mov_b32_e32 v21, v45                                     // 000000006FC8: 7E2A032D
	v_mov_b32_e32 v22, v49                                     // 000000006FCC: 7E2C0331
	v_mov_b32_e32 v23, v53                                     // 000000006FD0: 7E2E0335
	ds_write_b128 v5, v[20:23] offset:1056                     // 000000006FD4: D9BE0420 00001405
	v_mov_b32_e32 v20, v42                                     // 000000006FDC: 7E28032A
	v_mov_b32_e32 v21, v46                                     // 000000006FE0: 7E2A032E
	v_mov_b32_e32 v22, v50                                     // 000000006FE4: 7E2C0332
	v_mov_b32_e32 v23, v54                                     // 000000006FE8: 7E2E0336
	ds_write_b128 v5, v[20:23] offset:2112                     // 000000006FEC: D9BE0840 00001405
	v_mov_b32_e32 v20, v43                                     // 000000006FF4: 7E28032B
	v_mov_b32_e32 v21, v47                                     // 000000006FF8: 7E2A032F
	v_mov_b32_e32 v22, v51                                     // 000000006FFC: 7E2C0333
	v_mov_b32_e32 v23, v55                                     // 000000007000: 7E2E0337
	ds_write_b128 v5, v[20:23] offset:3168                     // 000000007004: D9BE0C60 00001405
	v_mov_b32_e32 v20, v56                                     // 00000000700C: 7E280338
	v_mov_b32_e32 v21, v60                                     // 000000007010: 7E2A033C
	v_mov_b32_e32 v22, v64                                     // 000000007014: 7E2C0340
	v_mov_b32_e32 v23, v68                                     // 000000007018: 7E2E0344
	ds_write_b128 v5, v[20:23] offset:4224                     // 00000000701C: D9BE1080 00001405
	v_mov_b32_e32 v20, v57                                     // 000000007024: 7E280339
	v_mov_b32_e32 v21, v61                                     // 000000007028: 7E2A033D
	v_mov_b32_e32 v22, v65                                     // 00000000702C: 7E2C0341
	v_mov_b32_e32 v23, v69                                     // 000000007030: 7E2E0345
	ds_write_b128 v5, v[20:23] offset:5280                     // 000000007034: D9BE14A0 00001405
	v_mov_b32_e32 v20, v58                                     // 00000000703C: 7E28033A
	v_mov_b32_e32 v21, v62                                     // 000000007040: 7E2A033E
	v_mov_b32_e32 v22, v66                                     // 000000007044: 7E2C0342
	v_mov_b32_e32 v23, v70                                     // 000000007048: 7E2E0346
	ds_write_b128 v5, v[20:23] offset:6336                     // 00000000704C: D9BE18C0 00001405
	v_mov_b32_e32 v20, v59                                     // 000000007054: 7E28033B
	v_mov_b32_e32 v21, v63                                     // 000000007058: 7E2A033F
	v_mov_b32_e32 v22, v67                                     // 00000000705C: 7E2C0343
	v_mov_b32_e32 v23, v71                                     // 000000007060: 7E2E0347
	ds_write_b128 v5, v[20:23] offset:7392                     // 000000007064: D9BE1CE0 00001405
	s_waitcnt lgkmcnt(4)                                       // 00000000706C: BF8CC47F
	ds_read_b128 v[40:43], v4                                  // 000000007070: D9FE0000 28000004
	ds_read_b128 v[44:47], v4 offset:64                        // 000000007078: D9FE0040 2C000004
	ds_read_b128 v[48:51], v4 offset:128                       // 000000007080: D9FE0080 30000004
	ds_read_b128 v[52:55], v4 offset:192                       // 000000007088: D9FE00C0 34000004
	s_waitcnt lgkmcnt(4)                                       // 000000007090: BF8CC47F
	ds_read_b128 v[56:59], v4 offset:4224                      // 000000007094: D9FE1080 38000004
	ds_read_b128 v[60:63], v4 offset:4288                      // 00000000709C: D9FE10C0 3C000004
	ds_read_b128 v[64:67], v4 offset:4352                      // 0000000070A4: D9FE1100 40000004
	ds_read_b128 v[68:71], v4 offset:4416                      // 0000000070AC: D9FE1140 44000004
	s_waitcnt lgkmcnt(0)                                       // 0000000070B4: BF8CC07F
	v_mov_b32_e32 v18, v19                                     // 0000000070B8: 7E240313
	buffer_store_dwordx4 v[40:43], v18, s[8:11], 0 offen       // 0000000070BC: E07C1000 80022812
	buffer_store_dwordx4 v[56:59], v18, s[8:11], 0 offen offset:256// 0000000070C4: E07C1100 80023812
	v_add_u32_e32 v18, 0x2000, v18                             // 0000000070CC: 682424FF 00002000
	buffer_store_dwordx4 v[44:47], v18, s[8:11], 0 offen       // 0000000070D4: E07C1000 80022C12
	buffer_store_dwordx4 v[60:63], v18, s[8:11], 0 offen offset:256// 0000000070DC: E07C1100 80023C12
	v_add_u32_e32 v18, 0x2000, v18                             // 0000000070E4: 682424FF 00002000
	buffer_store_dwordx4 v[48:51], v18, s[8:11], 0 offen       // 0000000070EC: E07C1000 80023012
	buffer_store_dwordx4 v[64:67], v18, s[8:11], 0 offen offset:256// 0000000070F4: E07C1100 80024012
	v_add_u32_e32 v18, 0x2000, v18                             // 0000000070FC: 682424FF 00002000
	buffer_store_dwordx4 v[52:55], v18, s[8:11], 0 offen       // 000000007104: E07C1000 80023412
	buffer_store_dwordx4 v[68:71], v18, s[8:11], 0 offen offset:256// 00000000710C: E07C1100 80024412
	v_add_u32_e32 v18, 0x2000, v18                             // 000000007114: 682424FF 00002000
	v_mov_b32_e32 v20, v72                                     // 00000000711C: 7E280348
	v_mov_b32_e32 v21, v76                                     // 000000007120: 7E2A034C
	v_mov_b32_e32 v22, v80                                     // 000000007124: 7E2C0350
	v_mov_b32_e32 v23, v84                                     // 000000007128: 7E2E0354
	ds_write_b128 v5, v[20:23]                                 // 00000000712C: D9BE0000 00001405
	v_mov_b32_e32 v20, v73                                     // 000000007134: 7E280349
	v_mov_b32_e32 v21, v77                                     // 000000007138: 7E2A034D
	v_mov_b32_e32 v22, v81                                     // 00000000713C: 7E2C0351
	v_mov_b32_e32 v23, v85                                     // 000000007140: 7E2E0355
	ds_write_b128 v5, v[20:23] offset:1056                     // 000000007144: D9BE0420 00001405
	v_mov_b32_e32 v20, v74                                     // 00000000714C: 7E28034A
	v_mov_b32_e32 v21, v78                                     // 000000007150: 7E2A034E
	v_mov_b32_e32 v22, v82                                     // 000000007154: 7E2C0352
	v_mov_b32_e32 v23, v86                                     // 000000007158: 7E2E0356
	ds_write_b128 v5, v[20:23] offset:2112                     // 00000000715C: D9BE0840 00001405
	v_mov_b32_e32 v20, v75                                     // 000000007164: 7E28034B
	v_mov_b32_e32 v21, v79                                     // 000000007168: 7E2A034F
	v_mov_b32_e32 v22, v83                                     // 00000000716C: 7E2C0353
	v_mov_b32_e32 v23, v87                                     // 000000007170: 7E2E0357
	ds_write_b128 v5, v[20:23] offset:3168                     // 000000007174: D9BE0C60 00001405
	v_mov_b32_e32 v20, v88                                     // 00000000717C: 7E280358
	v_mov_b32_e32 v21, v92                                     // 000000007180: 7E2A035C
	v_mov_b32_e32 v22, v96                                     // 000000007184: 7E2C0360
	v_mov_b32_e32 v23, v100                                    // 000000007188: 7E2E0364
	ds_write_b128 v5, v[20:23] offset:4224                     // 00000000718C: D9BE1080 00001405
	v_mov_b32_e32 v20, v89                                     // 000000007194: 7E280359
	v_mov_b32_e32 v21, v93                                     // 000000007198: 7E2A035D
	v_mov_b32_e32 v22, v97                                     // 00000000719C: 7E2C0361
	v_mov_b32_e32 v23, v101                                    // 0000000071A0: 7E2E0365
	ds_write_b128 v5, v[20:23] offset:5280                     // 0000000071A4: D9BE14A0 00001405
	v_mov_b32_e32 v20, v90                                     // 0000000071AC: 7E28035A
	v_mov_b32_e32 v21, v94                                     // 0000000071B0: 7E2A035E
	v_mov_b32_e32 v22, v98                                     // 0000000071B4: 7E2C0362
	v_mov_b32_e32 v23, v102                                    // 0000000071B8: 7E2E0366
	ds_write_b128 v5, v[20:23] offset:6336                     // 0000000071BC: D9BE18C0 00001405
	v_mov_b32_e32 v20, v91                                     // 0000000071C4: 7E28035B
	v_mov_b32_e32 v21, v95                                     // 0000000071C8: 7E2A035F
	v_mov_b32_e32 v22, v99                                     // 0000000071CC: 7E2C0363
	v_mov_b32_e32 v23, v103                                    // 0000000071D0: 7E2E0367
	ds_write_b128 v5, v[20:23] offset:7392                     // 0000000071D4: D9BE1CE0 00001405
	s_waitcnt lgkmcnt(4)                                       // 0000000071DC: BF8CC47F
	ds_read_b128 v[40:43], v4                                  // 0000000071E0: D9FE0000 28000004
	ds_read_b128 v[44:47], v4 offset:64                        // 0000000071E8: D9FE0040 2C000004
	ds_read_b128 v[48:51], v4 offset:128                       // 0000000071F0: D9FE0080 30000004
	ds_read_b128 v[52:55], v4 offset:192                       // 0000000071F8: D9FE00C0 34000004
	s_waitcnt lgkmcnt(4)                                       // 000000007200: BF8CC47F
	ds_read_b128 v[56:59], v4 offset:4224                      // 000000007204: D9FE1080 38000004
	ds_read_b128 v[60:63], v4 offset:4288                      // 00000000720C: D9FE10C0 3C000004
	ds_read_b128 v[64:67], v4 offset:4352                      // 000000007214: D9FE1100 40000004
	ds_read_b128 v[68:71], v4 offset:4416                      // 00000000721C: D9FE1140 44000004
	s_waitcnt lgkmcnt(0)                                       // 000000007224: BF8CC07F
	v_mov_b32_e32 v18, v19                                     // 000000007228: 7E240313
	buffer_store_dwordx4 v[40:43], v18, s[8:11], 0 offen offset:512// 00000000722C: E07C1200 80022812
	buffer_store_dwordx4 v[56:59], v18, s[8:11], 0 offen offset:768// 000000007234: E07C1300 80023812
	v_add_u32_e32 v18, 0x2000, v18                             // 00000000723C: 682424FF 00002000
	buffer_store_dwordx4 v[44:47], v18, s[8:11], 0 offen offset:512// 000000007244: E07C1200 80022C12
	buffer_store_dwordx4 v[60:63], v18, s[8:11], 0 offen offset:768// 00000000724C: E07C1300 80023C12
	v_add_u32_e32 v18, 0x2000, v18                             // 000000007254: 682424FF 00002000
	buffer_store_dwordx4 v[48:51], v18, s[8:11], 0 offen offset:512// 00000000725C: E07C1200 80023012
	buffer_store_dwordx4 v[64:67], v18, s[8:11], 0 offen offset:768// 000000007264: E07C1300 80024012
	v_add_u32_e32 v18, 0x2000, v18                             // 00000000726C: 682424FF 00002000
	buffer_store_dwordx4 v[52:55], v18, s[8:11], 0 offen offset:512// 000000007274: E07C1200 80023412
	buffer_store_dwordx4 v[68:71], v18, s[8:11], 0 offen offset:768// 00000000727C: E07C1300 80024412
	v_add_u32_e32 v18, 0x2000, v18                             // 000000007284: 682424FF 00002000
	v_mov_b32_e32 v20, v104                                    // 00000000728C: 7E280368
	v_mov_b32_e32 v21, v108                                    // 000000007290: 7E2A036C
	v_mov_b32_e32 v22, v112                                    // 000000007294: 7E2C0370
	v_mov_b32_e32 v23, v116                                    // 000000007298: 7E2E0374
	ds_write_b128 v5, v[20:23]                                 // 00000000729C: D9BE0000 00001405
	v_mov_b32_e32 v20, v105                                    // 0000000072A4: 7E280369
	v_mov_b32_e32 v21, v109                                    // 0000000072A8: 7E2A036D
	v_mov_b32_e32 v22, v113                                    // 0000000072AC: 7E2C0371
	v_mov_b32_e32 v23, v117                                    // 0000000072B0: 7E2E0375
	ds_write_b128 v5, v[20:23] offset:1056                     // 0000000072B4: D9BE0420 00001405
	v_mov_b32_e32 v20, v106                                    // 0000000072BC: 7E28036A
	v_mov_b32_e32 v21, v110                                    // 0000000072C0: 7E2A036E
	v_mov_b32_e32 v22, v114                                    // 0000000072C4: 7E2C0372
	v_mov_b32_e32 v23, v118                                    // 0000000072C8: 7E2E0376
	ds_write_b128 v5, v[20:23] offset:2112                     // 0000000072CC: D9BE0840 00001405
	v_mov_b32_e32 v20, v107                                    // 0000000072D4: 7E28036B
	v_mov_b32_e32 v21, v111                                    // 0000000072D8: 7E2A036F
	v_mov_b32_e32 v22, v115                                    // 0000000072DC: 7E2C0373
	v_mov_b32_e32 v23, v119                                    // 0000000072E0: 7E2E0377
	ds_write_b128 v5, v[20:23] offset:3168                     // 0000000072E4: D9BE0C60 00001405
	v_mov_b32_e32 v20, v120                                    // 0000000072EC: 7E280378
	v_mov_b32_e32 v21, v124                                    // 0000000072F0: 7E2A037C
	v_mov_b32_e32 v22, v128                                    // 0000000072F4: 7E2C0380
	v_mov_b32_e32 v23, v132                                    // 0000000072F8: 7E2E0384
	ds_write_b128 v5, v[20:23] offset:4224                     // 0000000072FC: D9BE1080 00001405
	v_mov_b32_e32 v20, v121                                    // 000000007304: 7E280379
	v_mov_b32_e32 v21, v125                                    // 000000007308: 7E2A037D
	v_mov_b32_e32 v22, v129                                    // 00000000730C: 7E2C0381
	v_mov_b32_e32 v23, v133                                    // 000000007310: 7E2E0385
	ds_write_b128 v5, v[20:23] offset:5280                     // 000000007314: D9BE14A0 00001405
	v_mov_b32_e32 v20, v122                                    // 00000000731C: 7E28037A
	v_mov_b32_e32 v21, v126                                    // 000000007320: 7E2A037E
	v_mov_b32_e32 v22, v130                                    // 000000007324: 7E2C0382
	v_mov_b32_e32 v23, v134                                    // 000000007328: 7E2E0386
	ds_write_b128 v5, v[20:23] offset:6336                     // 00000000732C: D9BE18C0 00001405
	v_mov_b32_e32 v20, v123                                    // 000000007334: 7E28037B
	v_mov_b32_e32 v21, v127                                    // 000000007338: 7E2A037F
	v_mov_b32_e32 v22, v131                                    // 00000000733C: 7E2C0383
	v_mov_b32_e32 v23, v135                                    // 000000007340: 7E2E0387
	ds_write_b128 v5, v[20:23] offset:7392                     // 000000007344: D9BE1CE0 00001405
	s_waitcnt lgkmcnt(4)                                       // 00000000734C: BF8CC47F
	ds_read_b128 v[40:43], v4                                  // 000000007350: D9FE0000 28000004
	ds_read_b128 v[44:47], v4 offset:64                        // 000000007358: D9FE0040 2C000004
	ds_read_b128 v[48:51], v4 offset:128                       // 000000007360: D9FE0080 30000004
	ds_read_b128 v[52:55], v4 offset:192                       // 000000007368: D9FE00C0 34000004
	s_waitcnt lgkmcnt(4)                                       // 000000007370: BF8CC47F
	ds_read_b128 v[56:59], v4 offset:4224                      // 000000007374: D9FE1080 38000004
	ds_read_b128 v[60:63], v4 offset:4288                      // 00000000737C: D9FE10C0 3C000004
	ds_read_b128 v[64:67], v4 offset:4352                      // 000000007384: D9FE1100 40000004
	ds_read_b128 v[68:71], v4 offset:4416                      // 00000000738C: D9FE1140 44000004
	s_waitcnt lgkmcnt(0)                                       // 000000007394: BF8CC07F
	v_mov_b32_e32 v18, v19                                     // 000000007398: 7E240313
	buffer_store_dwordx4 v[40:43], v18, s[8:11], 0 offen offset:1024// 00000000739C: E07C1400 80022812
	buffer_store_dwordx4 v[56:59], v18, s[8:11], 0 offen offset:1280// 0000000073A4: E07C1500 80023812
	v_add_u32_e32 v18, 0x2000, v18                             // 0000000073AC: 682424FF 00002000
	buffer_store_dwordx4 v[44:47], v18, s[8:11], 0 offen offset:1024// 0000000073B4: E07C1400 80022C12
	buffer_store_dwordx4 v[60:63], v18, s[8:11], 0 offen offset:1280// 0000000073BC: E07C1500 80023C12
	v_add_u32_e32 v18, 0x2000, v18                             // 0000000073C4: 682424FF 00002000
	buffer_store_dwordx4 v[48:51], v18, s[8:11], 0 offen offset:1024// 0000000073CC: E07C1400 80023012
	buffer_store_dwordx4 v[64:67], v18, s[8:11], 0 offen offset:1280// 0000000073D4: E07C1500 80024012
	v_add_u32_e32 v18, 0x2000, v18                             // 0000000073DC: 682424FF 00002000
	buffer_store_dwordx4 v[52:55], v18, s[8:11], 0 offen offset:1024// 0000000073E4: E07C1400 80023412
	buffer_store_dwordx4 v[68:71], v18, s[8:11], 0 offen offset:1280// 0000000073EC: E07C1500 80024412
	v_add_u32_e32 v18, 0x2000, v18                             // 0000000073F4: 682424FF 00002000
	v_mov_b32_e32 v20, v136                                    // 0000000073FC: 7E280388
	v_mov_b32_e32 v21, v140                                    // 000000007400: 7E2A038C
	v_mov_b32_e32 v22, v144                                    // 000000007404: 7E2C0390
	v_mov_b32_e32 v23, v148                                    // 000000007408: 7E2E0394
	ds_write_b128 v5, v[20:23]                                 // 00000000740C: D9BE0000 00001405
	v_mov_b32_e32 v20, v137                                    // 000000007414: 7E280389
	v_mov_b32_e32 v21, v141                                    // 000000007418: 7E2A038D
	v_mov_b32_e32 v22, v145                                    // 00000000741C: 7E2C0391
	v_mov_b32_e32 v23, v149                                    // 000000007420: 7E2E0395
	ds_write_b128 v5, v[20:23] offset:1056                     // 000000007424: D9BE0420 00001405
	v_mov_b32_e32 v20, v138                                    // 00000000742C: 7E28038A
	v_mov_b32_e32 v21, v142                                    // 000000007430: 7E2A038E
	v_mov_b32_e32 v22, v146                                    // 000000007434: 7E2C0392
	v_mov_b32_e32 v23, v150                                    // 000000007438: 7E2E0396
	ds_write_b128 v5, v[20:23] offset:2112                     // 00000000743C: D9BE0840 00001405
	v_mov_b32_e32 v20, v139                                    // 000000007444: 7E28038B
	v_mov_b32_e32 v21, v143                                    // 000000007448: 7E2A038F
	v_mov_b32_e32 v22, v147                                    // 00000000744C: 7E2C0393
	v_mov_b32_e32 v23, v151                                    // 000000007450: 7E2E0397
	ds_write_b128 v5, v[20:23] offset:3168                     // 000000007454: D9BE0C60 00001405
	v_mov_b32_e32 v20, v152                                    // 00000000745C: 7E280398
	v_mov_b32_e32 v21, v156                                    // 000000007460: 7E2A039C
	v_mov_b32_e32 v22, v160                                    // 000000007464: 7E2C03A0
	v_mov_b32_e32 v23, v164                                    // 000000007468: 7E2E03A4
	ds_write_b128 v5, v[20:23] offset:4224                     // 00000000746C: D9BE1080 00001405
	v_mov_b32_e32 v20, v153                                    // 000000007474: 7E280399
	v_mov_b32_e32 v21, v157                                    // 000000007478: 7E2A039D
	v_mov_b32_e32 v22, v161                                    // 00000000747C: 7E2C03A1
	v_mov_b32_e32 v23, v165                                    // 000000007480: 7E2E03A5
	ds_write_b128 v5, v[20:23] offset:5280                     // 000000007484: D9BE14A0 00001405
	v_mov_b32_e32 v20, v154                                    // 00000000748C: 7E28039A
	v_mov_b32_e32 v21, v158                                    // 000000007490: 7E2A039E
	v_mov_b32_e32 v22, v162                                    // 000000007494: 7E2C03A2
	v_mov_b32_e32 v23, v166                                    // 000000007498: 7E2E03A6
	ds_write_b128 v5, v[20:23] offset:6336                     // 00000000749C: D9BE18C0 00001405
	v_mov_b32_e32 v20, v155                                    // 0000000074A4: 7E28039B
	v_mov_b32_e32 v21, v159                                    // 0000000074A8: 7E2A039F
	v_mov_b32_e32 v22, v163                                    // 0000000074AC: 7E2C03A3
	v_mov_b32_e32 v23, v167                                    // 0000000074B0: 7E2E03A7
	ds_write_b128 v5, v[20:23] offset:7392                     // 0000000074B4: D9BE1CE0 00001405
	s_waitcnt lgkmcnt(4)                                       // 0000000074BC: BF8CC47F
	ds_read_b128 v[40:43], v4                                  // 0000000074C0: D9FE0000 28000004
	ds_read_b128 v[44:47], v4 offset:64                        // 0000000074C8: D9FE0040 2C000004
	ds_read_b128 v[48:51], v4 offset:128                       // 0000000074D0: D9FE0080 30000004
	ds_read_b128 v[52:55], v4 offset:192                       // 0000000074D8: D9FE00C0 34000004
	s_waitcnt lgkmcnt(4)                                       // 0000000074E0: BF8CC47F
	ds_read_b128 v[56:59], v4 offset:4224                      // 0000000074E4: D9FE1080 38000004
	ds_read_b128 v[60:63], v4 offset:4288                      // 0000000074EC: D9FE10C0 3C000004
	ds_read_b128 v[64:67], v4 offset:4352                      // 0000000074F4: D9FE1100 40000004
	ds_read_b128 v[68:71], v4 offset:4416                      // 0000000074FC: D9FE1140 44000004
	s_waitcnt lgkmcnt(0)                                       // 000000007504: BF8CC07F
	v_mov_b32_e32 v18, v19                                     // 000000007508: 7E240313
	buffer_store_dwordx4 v[40:43], v18, s[8:11], 0 offen offset:1536// 00000000750C: E07C1600 80022812
	buffer_store_dwordx4 v[56:59], v18, s[8:11], 0 offen offset:1792// 000000007514: E07C1700 80023812
	v_add_u32_e32 v18, 0x2000, v18                             // 00000000751C: 682424FF 00002000
	buffer_store_dwordx4 v[44:47], v18, s[8:11], 0 offen offset:1536// 000000007524: E07C1600 80022C12
	buffer_store_dwordx4 v[60:63], v18, s[8:11], 0 offen offset:1792// 00000000752C: E07C1700 80023C12
	v_add_u32_e32 v18, 0x2000, v18                             // 000000007534: 682424FF 00002000
	buffer_store_dwordx4 v[48:51], v18, s[8:11], 0 offen offset:1536// 00000000753C: E07C1600 80023012
	buffer_store_dwordx4 v[64:67], v18, s[8:11], 0 offen offset:1792// 000000007544: E07C1700 80024012
	v_add_u32_e32 v18, 0x2000, v18                             // 00000000754C: 682424FF 00002000
	buffer_store_dwordx4 v[52:55], v18, s[8:11], 0 offen offset:1536// 000000007554: E07C1600 80023412
	buffer_store_dwordx4 v[68:71], v18, s[8:11], 0 offen offset:1792// 00000000755C: E07C1700 80024412
	v_add_u32_e32 v18, 0x2000, v18                             // 000000007564: 682424FF 00002000
	buffer_store_dword v24, v26, s[12:15], 0 offen             // 00000000756C: E0701000 8003181A
	s_mul_i32 s56, 4, s77                                      // 000000007574: 92384D84
	v_add_u32_e64 v26, v26, s56                                // 000000007578: D134001A 0000711A

0000000000007580 <label_1960>:
	s_waitcnt vmcnt(0) expcnt(0) lgkmcnt(0)                    // 000000007580: BF8C0000
	s_endpgm                                                   // 000000007584: BF810000
